;; amdgpu-corpus repo=ROCm/rocFFT kind=compiled arch=gfx1201 opt=O3
	.text
	.amdgcn_target "amdgcn-amd-amdhsa--gfx1201"
	.amdhsa_code_object_version 6
	.protected	bluestein_single_fwd_len1989_dim1_half_op_CI_CI ; -- Begin function bluestein_single_fwd_len1989_dim1_half_op_CI_CI
	.globl	bluestein_single_fwd_len1989_dim1_half_op_CI_CI
	.p2align	8
	.type	bluestein_single_fwd_len1989_dim1_half_op_CI_CI,@function
bluestein_single_fwd_len1989_dim1_half_op_CI_CI: ; @bluestein_single_fwd_len1989_dim1_half_op_CI_CI
; %bb.0:
	s_load_b128 s[4:7], s[0:1], 0x28
	v_mul_u32_u24_e32 v1, 0x1ad, v0
	s_mov_b32 s2, exec_lo
	v_mov_b32_e32 v29, 0
	s_delay_alu instid0(VALU_DEP_2) | instskip(NEXT) | instid1(VALU_DEP_1)
	v_lshrrev_b32_e32 v1, 16, v1
	v_add_nc_u32_e32 v28, ttmp9, v1
	s_wait_kmcnt 0x0
	s_delay_alu instid0(VALU_DEP_1)
	v_cmpx_gt_u64_e64 s[4:5], v[28:29]
	s_cbranch_execz .LBB0_23
; %bb.1:
	s_clause 0x1
	s_load_b64 s[12:13], s[0:1], 0x0
	s_load_b64 s[14:15], s[0:1], 0x38
	v_mul_lo_u16 v1, 0x99, v1
	s_delay_alu instid0(VALU_DEP_1) | instskip(NEXT) | instid1(VALU_DEP_1)
	v_sub_nc_u16 v0, v0, v1
	v_and_b32_e32 v50, 0xffff, v0
	v_cmp_gt_u16_e32 vcc_lo, 0x75, v0
	s_delay_alu instid0(VALU_DEP_2)
	v_lshlrev_b32_e32 v49, 2, v50
	s_and_saveexec_b32 s3, vcc_lo
	s_cbranch_execz .LBB0_3
; %bb.2:
	s_load_b64 s[4:5], s[0:1], 0x18
	s_delay_alu instid0(VALU_DEP_1)
	v_add_nc_u32_e32 v37, 0xa00, v49
	v_add_nc_u32_e32 v39, 0x1200, v49
	;; [unrolled: 1-line block ×3, first 2 shown]
	s_wait_kmcnt 0x0
	s_load_b128 s[8:11], s[4:5], 0x0
	s_wait_kmcnt 0x0
	v_mad_co_u64_u32 v[0:1], null, s10, v28, 0
	v_mad_co_u64_u32 v[2:3], null, s8, v50, 0
	s_mul_u64 s[4:5], s[8:9], 0x1d4
	s_delay_alu instid0(VALU_DEP_1) | instskip(NEXT) | instid1(VALU_DEP_2)
	v_mad_co_u64_u32 v[4:5], null, s11, v28, v[1:2]
	v_mov_b32_e32 v1, v3
	s_delay_alu instid0(VALU_DEP_1) | instskip(NEXT) | instid1(VALU_DEP_3)
	v_mad_co_u64_u32 v[5:6], null, s9, v50, v[1:2]
	v_mov_b32_e32 v1, v4
	s_clause 0x7
	global_load_b32 v4, v49, s[12:13]
	global_load_b32 v6, v49, s[12:13] offset:468
	global_load_b32 v7, v49, s[12:13] offset:936
	;; [unrolled: 1-line block ×7, first 2 shown]
	v_lshlrev_b64_e32 v[0:1], 2, v[0:1]
	v_mov_b32_e32 v3, v5
	s_clause 0x8
	global_load_b32 v5, v49, s[12:13] offset:3744
	global_load_b32 v13, v49, s[12:13] offset:4212
	global_load_b32 v14, v49, s[12:13] offset:4680
	global_load_b32 v15, v49, s[12:13] offset:5148
	global_load_b32 v16, v49, s[12:13] offset:5616
	global_load_b32 v17, v49, s[12:13] offset:6084
	global_load_b32 v18, v49, s[12:13] offset:6552
	global_load_b32 v19, v49, s[12:13] offset:7020
	global_load_b32 v20, v49, s[12:13] offset:7488
	v_lshlrev_b64_e32 v[2:3], 2, v[2:3]
	v_add_co_u32 v0, s2, s6, v0
	s_delay_alu instid0(VALU_DEP_1) | instskip(NEXT) | instid1(VALU_DEP_2)
	v_add_co_ci_u32_e64 v1, s2, s7, v1, s2
	v_add_co_u32 v0, s2, v0, v2
	s_wait_alu 0xf1ff
	s_delay_alu instid0(VALU_DEP_2) | instskip(SKIP_1) | instid1(VALU_DEP_2)
	v_add_co_ci_u32_e64 v1, s2, v1, v3, s2
	s_wait_alu 0xfffe
	v_add_co_u32 v2, s2, v0, s4
	s_wait_alu 0xf1ff
	s_delay_alu instid0(VALU_DEP_2)
	v_add_co_ci_u32_e64 v3, s2, s5, v1, s2
	s_clause 0x1
	global_load_b32 v21, v[0:1], off
	global_load_b32 v22, v[2:3], off
	v_add_co_u32 v0, s2, v2, s4
	s_wait_alu 0xf1ff
	v_add_co_ci_u32_e64 v1, s2, s5, v3, s2
	s_delay_alu instid0(VALU_DEP_2) | instskip(SKIP_1) | instid1(VALU_DEP_2)
	v_add_co_u32 v2, s2, v0, s4
	s_wait_alu 0xf1ff
	v_add_co_ci_u32_e64 v3, s2, s5, v1, s2
	s_clause 0x1
	global_load_b32 v23, v[0:1], off
	global_load_b32 v24, v[2:3], off
	v_add_co_u32 v0, s2, v2, s4
	s_wait_alu 0xf1ff
	v_add_co_ci_u32_e64 v1, s2, s5, v3, s2
	s_delay_alu instid0(VALU_DEP_2) | instskip(SKIP_1) | instid1(VALU_DEP_2)
	v_add_co_u32 v2, s2, v0, s4
	s_wait_alu 0xf1ff
	v_add_co_ci_u32_e64 v3, s2, s5, v1, s2
	global_load_b32 v25, v[0:1], off
	global_load_b32 v26, v[2:3], off
	v_add_co_u32 v0, s2, v2, s4
	s_wait_alu 0xf1ff
	v_add_co_ci_u32_e64 v1, s2, s5, v3, s2
	s_delay_alu instid0(VALU_DEP_2) | instskip(SKIP_1) | instid1(VALU_DEP_2)
	v_add_co_u32 v2, s2, v0, s4
	s_wait_alu 0xf1ff
	v_add_co_ci_u32_e64 v3, s2, s5, v1, s2
	global_load_b32 v27, v[0:1], off
	v_add_co_u32 v0, s2, v2, s4
	s_wait_alu 0xf1ff
	v_add_co_ci_u32_e64 v1, s2, s5, v3, s2
	global_load_b32 v29, v[2:3], off
	global_load_b32 v30, v[0:1], off
	v_add_co_u32 v0, s2, v0, s4
	s_wait_alu 0xf1ff
	v_add_co_ci_u32_e64 v1, s2, s5, v1, s2
	s_delay_alu instid0(VALU_DEP_2) | instskip(SKIP_1) | instid1(VALU_DEP_2)
	v_add_co_u32 v2, s2, v0, s4
	s_wait_alu 0xf1ff
	v_add_co_ci_u32_e64 v3, s2, s5, v1, s2
	global_load_b32 v31, v[0:1], off
	v_add_co_u32 v0, s2, v2, s4
	s_wait_alu 0xf1ff
	v_add_co_ci_u32_e64 v1, s2, s5, v3, s2
	global_load_b32 v32, v[2:3], off
	global_load_b32 v33, v[0:1], off
	v_add_co_u32 v0, s2, v0, s4
	s_wait_alu 0xf1ff
	v_add_co_ci_u32_e64 v1, s2, s5, v1, s2
	s_delay_alu instid0(VALU_DEP_2) | instskip(SKIP_1) | instid1(VALU_DEP_2)
	v_add_co_u32 v2, s2, v0, s4
	s_wait_alu 0xf1ff
	v_add_co_ci_u32_e64 v3, s2, s5, v1, s2
	global_load_b32 v34, v[0:1], off
	v_add_co_u32 v0, s2, v2, s4
	s_wait_alu 0xf1ff
	v_add_co_ci_u32_e64 v1, s2, s5, v3, s2
	global_load_b32 v35, v[2:3], off
	v_add_co_u32 v2, s2, v0, s4
	s_wait_alu 0xf1ff
	v_add_co_ci_u32_e64 v3, s2, s5, v1, s2
	global_load_b32 v36, v[0:1], off
	;; [unrolled: 4-line block ×3, first 2 shown]
	global_load_b32 v0, v[0:1], off
	v_add_nc_u32_e32 v1, 0x200, v49
	v_add_nc_u32_e32 v3, 0x600, v49
	s_wait_loadcnt 0x21
	v_lshrrev_b32_e32 v40, 16, v4
	s_wait_loadcnt 0x20
	v_lshrrev_b32_e32 v41, 16, v6
	s_wait_loadcnt 0x1f
	v_lshrrev_b32_e32 v42, 16, v7
	s_wait_loadcnt 0x1e
	v_lshrrev_b32_e32 v43, 16, v8
	s_wait_loadcnt 0x1d
	v_lshrrev_b32_e32 v44, 16, v9
	s_wait_loadcnt 0x1c
	v_lshrrev_b32_e32 v45, 16, v10
	s_wait_loadcnt 0x1b
	v_lshrrev_b32_e32 v46, 16, v11
	s_wait_loadcnt 0x1a
	v_lshrrev_b32_e32 v47, 16, v12
	s_wait_loadcnt 0x19
	v_lshrrev_b32_e32 v48, 16, v5
	s_wait_loadcnt 0x18
	v_lshrrev_b32_e32 v51, 16, v13
	s_wait_loadcnt 0x17
	v_lshrrev_b32_e32 v52, 16, v14
	s_wait_loadcnt 0x16
	v_lshrrev_b32_e32 v53, 16, v15
	s_wait_loadcnt 0x15
	v_lshrrev_b32_e32 v54, 16, v16
	s_wait_loadcnt 0x14
	v_lshrrev_b32_e32 v56, 16, v17
	s_wait_loadcnt 0x13
	v_lshrrev_b32_e32 v57, 16, v18
	s_wait_loadcnt 0x12
	v_lshrrev_b32_e32 v58, 16, v19
	s_wait_loadcnt 0x11
	v_lshrrev_b32_e32 v61, 16, v20
	s_wait_loadcnt 0x10
	v_lshrrev_b32_e32 v55, 16, v21
	v_mul_f16_e32 v59, v40, v21
	s_wait_loadcnt 0xf
	v_lshrrev_b32_e32 v60, 16, v22
	v_mul_f16_e32 v62, v41, v22
	v_mul_f16_e32 v40, v40, v55
	v_fma_f16 v55, v4, v55, -v59
	s_delay_alu instid0(VALU_DEP_2)
	v_fmac_f16_e32 v40, v4, v21
	v_mul_f16_e32 v4, v41, v60
	v_fma_f16 v41, v6, v60, -v62
	s_wait_loadcnt 0xe
	v_lshrrev_b32_e32 v21, 16, v23
	v_mul_f16_e32 v59, v42, v23
	v_fmac_f16_e32 v4, v6, v22
	s_wait_loadcnt 0xd
	v_lshrrev_b32_e32 v22, 16, v24
	v_pack_b32_f16 v40, v40, v55
	v_mul_f16_e32 v6, v42, v21
	v_mul_f16_e32 v42, v43, v24
	v_fma_f16 v21, v7, v21, -v59
	v_pack_b32_f16 v4, v4, v41
	s_delay_alu instid0(VALU_DEP_4)
	v_fmac_f16_e32 v6, v7, v23
	v_mul_f16_e32 v7, v43, v22
	s_wait_loadcnt 0xc
	v_lshrrev_b32_e32 v23, 16, v25
	v_fma_f16 v22, v8, v22, -v42
	v_mul_f16_e32 v41, v44, v25
	ds_store_2addr_b32 v49, v40, v4 offset1:117
	v_pack_b32_f16 v4, v6, v21
	v_fmac_f16_e32 v7, v8, v24
	v_mul_f16_e32 v6, v44, v23
	s_wait_loadcnt 0xb
	v_lshrrev_b32_e32 v8, 16, v26
	v_mul_f16_e32 v21, v45, v26
	v_fma_f16 v23, v9, v23, -v41
	v_pack_b32_f16 v7, v7, v22
	v_fmac_f16_e32 v6, v9, v25
	v_mul_f16_e32 v9, v45, v8
	v_fma_f16 v8, v10, v8, -v21
	s_wait_loadcnt 0xa
	v_lshrrev_b32_e32 v21, 16, v27
	v_mul_f16_e32 v22, v46, v27
	ds_store_2addr_b32 v1, v4, v7 offset0:106 offset1:223
	v_pack_b32_f16 v1, v6, v23
	v_fmac_f16_e32 v9, v10, v26
	v_mul_f16_e32 v4, v46, v21
	s_wait_loadcnt 0x9
	v_lshrrev_b32_e32 v6, 16, v29
	v_mul_f16_e32 v7, v47, v29
	v_fma_f16 v10, v11, v21, -v22
	v_pack_b32_f16 v8, v9, v8
	v_fmac_f16_e32 v4, v11, v27
	v_mul_f16_e32 v9, v47, v6
	v_fma_f16 v6, v12, v6, -v7
	s_wait_loadcnt 0x8
	v_lshrrev_b32_e32 v7, 16, v30
	v_mul_f16_e32 v11, v48, v30
	ds_store_2addr_b32 v3, v1, v8 offset0:84 offset1:201
	;; [unrolled: 15-line block ×3, first 2 shown]
	v_fmac_f16_e32 v5, v13, v31
	s_wait_loadcnt 0x5
	v_lshrrev_b32_e32 v6, 16, v33
	v_pack_b32_f16 v1, v3, v7
	v_mul_f16_e32 v3, v52, v8
	v_fma_f16 v7, v14, v8, -v9
	v_mul_f16_e32 v8, v53, v33
	v_pack_b32_f16 v4, v5, v4
	v_mul_f16_e32 v5, v53, v6
	v_fmac_f16_e32 v3, v14, v32
	s_wait_loadcnt 0x4
	v_lshrrev_b32_e32 v9, 16, v34
	v_fma_f16 v6, v15, v6, -v8
	v_mul_f16_e32 v8, v54, v34
	v_fmac_f16_e32 v5, v15, v33
	s_wait_loadcnt 0x3
	v_lshrrev_b32_e32 v10, 16, v35
	v_pack_b32_f16 v3, v3, v7
	v_mul_f16_e32 v7, v54, v9
	v_fma_f16 v8, v16, v9, -v8
	v_mul_f16_e32 v9, v56, v35
	v_pack_b32_f16 v5, v5, v6
	v_mul_f16_e32 v6, v56, v10
	v_fmac_f16_e32 v7, v16, v34
	s_wait_loadcnt 0x2
	v_lshrrev_b32_e32 v11, 16, v36
	v_fma_f16 v9, v17, v10, -v9
	v_mul_f16_e32 v10, v57, v36
	v_fmac_f16_e32 v6, v17, v35
	s_wait_loadcnt 0x1
	v_lshrrev_b32_e32 v12, 16, v2
	s_wait_loadcnt 0x0
	v_lshrrev_b32_e32 v13, 16, v0
	v_pack_b32_f16 v7, v7, v8
	v_mul_f16_e32 v8, v57, v11
	v_fma_f16 v10, v18, v11, -v10
	v_mul_f16_e32 v11, v58, v2
	v_pack_b32_f16 v6, v6, v9
	v_mul_f16_e32 v9, v58, v12
	v_mul_f16_e32 v14, v61, v13
	;; [unrolled: 1-line block ×3, first 2 shown]
	v_fmac_f16_e32 v8, v18, v36
	v_fma_f16 v11, v19, v12, -v11
	v_fmac_f16_e32 v9, v19, v2
	v_fmac_f16_e32 v14, v20, v0
	v_fma_f16 v0, v20, v13, -v15
	v_add_nc_u32_e32 v2, 0x1400, v49
	v_pack_b32_f16 v8, v8, v10
	v_pack_b32_f16 v9, v9, v11
	v_add_nc_u32_e32 v10, 0x1800, v49
	v_pack_b32_f16 v0, v14, v0
	ds_store_2addr_b32 v38, v1, v4 offset0:40 offset1:157
	ds_store_2addr_b32 v39, v3, v5 offset0:18 offset1:135
	;; [unrolled: 1-line block ×4, first 2 shown]
	ds_store_b32 v49, v0 offset:7488
.LBB0_3:
	s_or_b32 exec_lo, exec_lo, s3
	s_clause 0x1
	s_load_b64 s[4:5], s[0:1], 0x20
	s_load_b64 s[2:3], s[0:1], 0x8
	v_mov_b32_e32 v4, 0
	global_wb scope:SCOPE_SE
	s_wait_dscnt 0x0
	s_wait_kmcnt 0x0
	s_barrier_signal -1
	s_barrier_wait -1
	global_inv scope:SCOPE_SE
                                        ; implicit-def: $vgpr16
                                        ; implicit-def: $vgpr1
                                        ; implicit-def: $vgpr3
                                        ; implicit-def: $vgpr7
                                        ; implicit-def: $vgpr9
                                        ; implicit-def: $vgpr13
                                        ; implicit-def: $vgpr11
                                        ; implicit-def: $vgpr15
                                        ; implicit-def: $vgpr57
	s_and_saveexec_b32 s0, vcc_lo
	s_cbranch_execz .LBB0_5
; %bb.4:
	v_add_nc_u32_e32 v0, 0x200, v49
	v_add_nc_u32_e32 v1, 0x600, v49
	;; [unrolled: 1-line block ×3, first 2 shown]
	ds_load_2addr_b32 v[4:5], v49 offset1:117
	v_add_nc_u32_e32 v3, 0x1400, v49
	ds_load_2addr_b32 v[14:15], v0 offset0:106 offset1:223
	ds_load_2addr_b32 v[10:11], v1 offset0:84 offset1:201
	v_add_nc_u32_e32 v0, 0xe00, v49
	v_add_nc_u32_e32 v1, 0x1200, v49
	;; [unrolled: 1-line block ×3, first 2 shown]
	ds_load_2addr_b32 v[12:13], v2 offset0:62 offset1:179
	ds_load_2addr_b32 v[8:9], v0 offset0:40 offset1:157
	;; [unrolled: 1-line block ×5, first 2 shown]
	ds_load_b32 v16, v49 offset:7488
	s_wait_dscnt 0x7
	v_alignbit_b32 v57, v14, v14, 16
.LBB0_5:
	s_wait_alu 0xfffe
	s_or_b32 exec_lo, exec_lo, s0
	s_wait_dscnt 0x0
	v_pk_add_f16 v14, v5, v16 neg_lo:[0,1] neg_hi:[0,1]
	v_pk_add_f16 v20, v57, v1 op_sel:[1,0] op_sel_hi:[0,1] neg_lo:[0,1] neg_hi:[0,1]
	v_pk_add_f16 v18, v16, v5
	v_pk_add_f16 v17, v1, v57 op_sel:[1,0] op_sel_hi:[0,1]
	v_pk_add_f16 v19, v15, v0 neg_lo:[0,1] neg_hi:[0,1]
	v_lshrrev_b32_e32 v105, 16, v14
	v_lshrrev_b32_e32 v103, 16, v20
	v_pk_mul_f16 v31, 0x3b7639e9, v18
	v_lshrrev_b32_e32 v65, 16, v17
	v_lshrrev_b32_e32 v102, 16, v19
	v_mul_f16_e32 v35, 0xb5c8, v105
	v_mul_f16_e32 v52, 0xbb29, v105
	v_mul_f16_e32 v61, 0xbbf7, v105
	v_mul_f16_e32 v34, 0xb964, v103
	v_mul_f16_e32 v54, 0xba62, v103
	v_fmamk_f16 v21, v18, 0x3b76, v35
	v_fmamk_f16 v22, v18, 0x3722, v52
	;; [unrolled: 1-line block ×4, first 2 shown]
	v_mul_f16_e32 v62, 0xb1e1, v103
	v_add_f16_e32 v21, v21, v4
	v_add_f16_e32 v25, v22, v4
	;; [unrolled: 1-line block ×3, first 2 shown]
	v_fmamk_f16 v27, v65, 0xb8d2, v54
	v_fmamk_f16 v29, v65, 0xbbdd, v62
	v_add_f16_e32 v24, v24, v21
	v_pk_add_f16 v21, v0, v15
	v_mul_f16_e32 v38, 0xbb29, v102
	v_pk_add_f16 v22, v10, v3 neg_lo:[0,1] neg_hi:[0,1]
	v_add_f16_e32 v25, v27, v25
	v_add_f16_e32 v27, v29, v23
	v_mul_f16_e32 v58, 0x31e1, v102
	v_fmamk_f16 v29, v21, 0x3722, v38
	v_lshrrev_b32_e32 v112, 16, v22
	v_pk_add_f16 v23, v3, v10
	v_mul_f16_e32 v68, 0x3bb2, v102
	v_fmamk_f16 v30, v21, 0xbbdd, v58
	v_add_f16_e32 v29, v29, v24
	v_mul_f16_e32 v41, 0xbbf7, v112
	v_pk_add_f16 v24, v11, v2 neg_lo:[0,1] neg_hi:[0,1]
	v_mul_f16_e32 v60, 0x3bb2, v112
	v_add_f16_e32 v30, v30, v25
	v_fmamk_f16 v32, v21, 0xb461, v68
	v_fmamk_f16 v25, v23, 0x2de8, v41
	v_lshrrev_b32_e32 v114, 16, v24
	v_mul_f16_e32 v71, 0x35c8, v112
	v_fmamk_f16 v36, v23, 0xb461, v60
	v_pk_mul_f16 v37, 0xbbf7b964, v20
	v_add_f16_e32 v29, v25, v29
	v_pk_add_f16 v25, v2, v11
	v_mul_f16_e32 v59, 0x3964, v114
	v_pk_fma_f16 v26, 0xb964b5c8, v14, v31 op_sel:[0,0,1] op_sel_hi:[1,1,0]
	v_add_f16_e32 v32, v32, v27
	v_fmamk_f16 v39, v23, 0x3b76, v71
	v_mul_f16_e32 v43, 0xbbb2, v114
	v_pk_add_f16 v27, v12, v7 neg_lo:[0,1] neg_hi:[0,1]
	v_add_f16_e32 v30, v36, v30
	v_fmamk_f16 v44, v25, 0x39e9, v59
	v_pk_fma_f16 v33, 0x2de839e9, v17, v37
	v_pk_mul_f16 v42, 0x3722b8d2, v21
	v_add_f16_e32 v32, v39, v32
	v_fmamk_f16 v39, v25, 0xb461, v43
	v_lshrrev_b32_e32 v123, 16, v27
	v_add_f16_e32 v30, v44, v30
	v_lshrrev_b32_e32 v44, 16, v26
	v_pk_fma_f16 v40, 0xba62bb29, v19, v42 op_sel:[0,0,1] op_sel_hi:[1,1,0]
	v_pk_mul_f16 v47, 0x2de8bbdd, v23
	v_mul_f16_e32 v74, 0xbb29, v114
	v_pk_add_f16 v36, v7, v12
	v_mul_f16_e32 v56, 0xba62, v123
	v_add_f16_e32 v29, v39, v29
	v_pk_add_f16 v39, v13, v6 neg_lo:[0,1] neg_hi:[0,1]
	v_add_f16_e32 v44, v44, v4
	v_lshrrev_b32_e32 v53, 16, v33
	v_pk_fma_f16 v46, 0xb1e1bbf7, v22, v47 op_sel:[0,0,1] op_sel_hi:[1,1,0]
	v_pk_mul_f16 v48, 0xb461bacd, v25
	v_fmamk_f16 v45, v25, 0x3722, v74
	v_fmamk_f16 v51, v36, 0xb8d2, v56
	v_mul_f16_e32 v70, 0xb5c8, v123
	v_lshrrev_b32_e32 v128, 16, v39
	v_mul_f16_e32 v76, 0xb836, v123
	v_add_f16_e32 v44, v53, v44
	v_lshrrev_b32_e32 v53, 16, v40
	v_pk_fma_f16 v55, 0x3836bbb2, v24, v48 op_sel:[0,0,1] op_sel_hi:[1,1,0]
	v_add_f16_e32 v32, v45, v32
	v_add_f16_e32 v29, v51, v29
	v_pk_mul_f16 v51, 0xb8d2b461, v36
	v_fmamk_f16 v66, v36, 0x3b76, v70
	v_pk_add_f16 v45, v6, v13
	v_mul_f16_e64 v63, 0xb836, v128
	v_fmamk_f16 v67, v36, 0xbacd, v76
	v_add_f16_e32 v53, v53, v44
	v_lshrrev_b32_e32 v69, 16, v46
	v_pk_fma_f16 v64, 0x3bb2ba62, v27, v51 op_sel:[0,0,1] op_sel_hi:[1,1,0]
	v_add_f16_e32 v30, v66, v30
	v_fmamk_f16 v66, v45, 0xbacd, v63
	v_add_f16_e32 v32, v67, v32
	v_pk_mul_f16 v91, 0xbacd3722, v45
	v_pk_add_f16 v44, v8, v9 neg_lo:[0,1] neg_hi:[0,1]
	v_add_f16_e32 v67, v69, v53
	v_lshrrev_b32_e32 v69, 16, v55
	v_mul_f16_e64 v72, 0xbbf7, v128
	v_pk_add_f16 v53, v9, v8
	v_add_f16_e32 v29, v66, v29
	v_pk_fma_f16 v66, 0x3b29b836, v39, v91 op_sel:[0,0,1] op_sel_hi:[1,1,0]
	v_lshrrev_b32_e32 v127, 16, v44
	v_add_f16_e32 v69, v69, v67
	v_lshrrev_b32_e32 v73, 16, v64
	v_fmamk_f16 v75, v45, 0x2de8, v72
	v_pk_mul_f16 v93, 0xbbdd3b76, v53
	v_mul_f16_e64 v78, 0x3a62, v128
	v_mul_f16_e32 v67, 0xb1e1, v127
	v_add_f16_e32 v73, v73, v69
	v_lshrrev_b32_e32 v77, 16, v66
	v_pk_fma_f16 v69, 0x35c8b1e1, v44, v93 op_sel:[0,0,1] op_sel_hi:[1,1,0]
	v_add_f16_e32 v83, v75, v30
	v_fmamk_f16 v30, v45, 0xb8d2, v78
	v_lshrrev_b32_e32 v109, 16, v18
	v_mul_f16_e32 v80, 0xb964, v14
	v_fmamk_f16 v75, v53, 0xbbdd, v67
	v_add_f16_e32 v77, v77, v73
	v_lshrrev_b32_e32 v79, 16, v69
	v_add_f16_e32 v104, v30, v32
	v_lshrrev_b32_e32 v81, 16, v4
	v_fma_f16 v32, v109, 0x39e9, -v80
	v_mul_f16_e32 v82, 0xbbf7, v20
	v_mul_f16_e32 v95, 0xbb29, v14
	v_add_f16_e32 v30, v75, v29
	v_add_f16_e32 v29, v79, v77
	;; [unrolled: 1-line block ×3, first 2 shown]
	v_fma_f16 v75, v17, 0x2de8, -v82
	v_fma_f16 v77, v109, 0x3722, -v95
	v_mul_f16_e32 v96, 0xba62, v20
	v_mul_f16_e32 v115, 0xbbf7, v14
	;; [unrolled: 1-line block ×3, first 2 shown]
	v_add_f16_e32 v32, v75, v32
	v_add_f16_e32 v77, v77, v81
	v_fma_f16 v79, v17, 0xb8d2, -v96
	v_fma_f16 v86, v109, 0x2de8, -v115
	v_lshrrev_b32_e32 v110, 16, v21
	v_mul_f16_e32 v75, 0xba62, v19
	v_mul_f16_e32 v97, 0x31e1, v19
	v_add_f16_e32 v79, v79, v77
	v_add_f16_e32 v86, v86, v81
	v_fma_f16 v87, v17, 0xbbdd, -v116
	v_fma_f16 v88, v110, 0xb8d2, -v75
	;; [unrolled: 1-line block ×3, first 2 shown]
	v_mul_f16_e32 v118, 0x3bb2, v19
	v_lshrrev_b32_e32 v108, 16, v23
	v_mul_f16_e32 v77, 0xb1e1, v22
	v_mul_f16_e32 v73, 0xb836, v127
	v_add_f16_e32 v86, v87, v86
	v_add_f16_e32 v32, v88, v32
	v_add_f16_e32 v87, v89, v79
	v_fma_f16 v88, v110, 0xb461, -v118
	v_fma_f16 v89, v108, 0xbbdd, -v77
	v_mul_f16_e32 v98, 0x3bb2, v22
	v_lshrrev_b32_e32 v107, 16, v25
	v_mul_f16_e32 v79, 0x3836, v24
	v_fmamk_f16 v85, v53, 0xbacd, v73
	v_mul_f16_e32 v119, 0x35c8, v22
	v_add_f16_e32 v86, v88, v86
	v_add_f16_e32 v88, v89, v32
	v_fma_f16 v89, v108, 0xb461, -v98
	v_fma_f16 v92, v107, 0xbacd, -v79
	v_mul_f16_e32 v99, 0x3964, v24
	v_fma_f16 v90, v108, 0x3b76, -v119
	v_add_f16_e32 v32, v85, v83
	v_add_f16_e32 v85, v89, v87
	;; [unrolled: 1-line block ×3, first 2 shown]
	v_mul_f16_e32 v122, 0xbb29, v24
	v_fma_f16 v88, v107, 0x39e9, -v99
	v_add_f16_e32 v86, v90, v86
	v_lshrrev_b32_e32 v113, 16, v36
	v_mul_f16_e32 v83, 0x3bb2, v27
	v_fma_f16 v89, v107, 0x3722, -v122
	v_add_f16_e32 v88, v88, v85
	v_pk_fma_f16 v85, 0xb964b5c8, v14, v31 op_sel:[0,0,1] op_sel_hi:[1,1,0] neg_lo:[0,1,0] neg_hi:[0,1,0]
	v_mul_f16_e32 v101, 0xb5c8, v27
	v_fma_f16 v90, v113, 0xb461, -v83
	v_add_f16_e32 v89, v89, v86
	v_pk_fma_f16 v86, 0x2de839e9, v17, v37 neg_lo:[0,0,1] neg_hi:[0,0,1]
	v_add_f16_e32 v37, v85, v81
	v_mul_f16_e32 v121, 0xb836, v27
	v_fma_f16 v92, v113, 0x3b76, -v101
	v_add_f16_e32 v90, v90, v87
	v_pk_fma_f16 v87, 0xba62bb29, v19, v42 op_sel:[0,0,1] op_sel_hi:[1,1,0] neg_lo:[0,1,0] neg_hi:[0,1,0]
	v_add_f16_e32 v37, v86, v37
	v_fma_f16 v31, v113, 0xbacd, -v121
	v_add_f16_e32 v94, v92, v88
	v_lshrrev_b32_e32 v117, 16, v45
	v_mul_f16_e32 v92, 0x3b29, v39
	v_mul_f16_e32 v125, 0x3a62, v39
	v_pk_fma_f16 v88, 0xb1e1bbf7, v22, v47 op_sel:[0,0,1] op_sel_hi:[1,1,0] neg_lo:[0,1,0] neg_hi:[0,1,0]
	v_add_f16_e32 v37, v87, v37
	v_add_f16_e32 v31, v31, v89
	v_mul_f16_e32 v106, 0xbbf7, v39
	v_fma_f16 v42, v117, 0x3722, -v92
	v_fma_f16 v100, v117, 0xb8d2, -v125
	v_pk_fma_f16 v89, 0x3836bbb2, v24, v48 op_sel:[0,0,1] op_sel_hi:[1,1,0] neg_lo:[0,1,0] neg_hi:[0,1,0]
	v_add_f16_e32 v37, v88, v37
	v_fma_f16 v47, v117, 0x2de8, -v106
	v_add_f16_e32 v42, v42, v90
	v_add_f16_e32 v48, v100, v31
	v_pk_fma_f16 v90, 0x3bb2ba62, v27, v51 op_sel:[0,0,1] op_sel_hi:[1,1,0] neg_lo:[0,1,0] neg_hi:[0,1,0]
	v_add_f16_e32 v31, v89, v37
	v_mul_f16_e32 v84, 0x3964, v127
	v_add_f16_e32 v47, v47, v94
	v_lshrrev_b32_e32 v120, 16, v53
	v_mul_f16_e32 v94, 0x35c8, v44
	v_mul_f16_e32 v100, 0xb836, v44
	;; [unrolled: 1-line block ×3, first 2 shown]
	v_pk_fma_f16 v91, 0x3b29b836, v39, v91 op_sel:[0,0,1] op_sel_hi:[1,1,0] neg_lo:[0,1,0] neg_hi:[0,1,0]
	v_add_f16_e32 v31, v90, v31
	v_fmamk_f16 v111, v53, 0x39e9, v84
	v_fma_f16 v37, v120, 0x3b76, -v94
	v_fma_f16 v51, v120, 0xbacd, -v100
	v_fma_f16 v124, v120, 0x39e9, -v126
	v_pk_fma_f16 v93, 0x35c8b1e1, v44, v93 op_sel:[0,0,1] op_sel_hi:[1,1,0] neg_lo:[0,1,0] neg_hi:[0,1,0]
	v_add_f16_e64 v129, v91, v31
	v_add_f16_e32 v31, v111, v104
	v_add_f16_e32 v37, v37, v42
	;; [unrolled: 1-line block ×4, first 2 shown]
	v_add_f16_e64 v42, v93, v129
	v_mul_lo_u16 v51, v50, 17
	global_wb scope:SCOPE_SE
	s_barrier_signal -1
	s_barrier_wait -1
	global_inv scope:SCOPE_SE
	s_and_saveexec_b32 s0, vcc_lo
	s_cbranch_execz .LBB0_7
; %bb.6:
	v_mul_f16_e64 v129, 0xb461, v109
	v_mul_f16_e64 v130, 0xbacd, v17
	;; [unrolled: 1-line block ×5, first 2 shown]
	v_fma_f16 v104, 0x3bb2, v14, v129
	v_fma_f16 v124, 0xb836, v20, v130
	v_fma_f16 v111, 0xb461, v18, v132
	v_mul_f16_e64 v133, 0x3722, v108
	v_mul_f16_e64 v136, 0x3964, v102
	v_add_f16_e32 v104, v104, v81
	v_fma_f16 v137, 0xbacd, v65, v135
	v_fma_f16 v138, 0xb964, v19, v131
	v_add_f16_e32 v111, v111, v4
	v_mul_f16_e64 v134, 0xbbdd, v107
	v_add_f16_e32 v104, v124, v104
	v_mul_f16_e64 v139, 0xbb29, v112
	v_fma_f16 v124, 0x39e9, v21, v136
	v_fma_f16 v140, 0x3b29, v22, v133
	v_add_f16_e64 v111, v137, v111
	v_add_f16_e64 v104, v138, v104
	v_mul_f16_e64 v137, 0xb1e1, v114
	v_fma_f16 v138, 0x3722, v23, v139
	v_fma_f16 v141, 0x31e1, v24, v134
	v_add_f16_e32 v111, v124, v111
	v_add_f16_e64 v104, v140, v104
	v_mul_f16_e64 v140, 0x2de8, v113
	v_mul_f16_e64 v142, 0x3bf7, v123
	v_fma_f16 v124, 0xbbdd, v25, v137
	v_add_f16_e64 v111, v138, v111
	v_add_f16_e64 v104, v141, v104
	v_fma_f16 v138, 0xbbf7, v27, v140
	v_mul_f16_e64 v144, 0x3b76, v117
	v_fma_f16 v143, 0x2de8, v36, v142
	v_add_f16_e32 v111, v124, v111
	v_mul_f16_e64 v149, 0xb8d2, v120
	v_add_f16_e64 v104, v138, v104
	v_fma_f16 v147, 0x35c8, v39, v144
	v_mul_f16_e64 v151, 0xba62, v105
	v_add_f16_e64 v111, v143, v111
	v_mul_f16_e64 v143, 0xb5c8, v128
	v_mul_f16_e64 v155, 0x3bb2, v103
	v_add_f16_e64 v104, v147, v104
	v_fma_f16 v147, 0x3a62, v44, v149
	v_fma_f16 v154, 0xb8d2, v18, v151
	;; [unrolled: 1-line block ×4, first 2 shown]
	v_mul_f16_e64 v158, 0xb5c8, v102
	v_add_f16_e64 v104, v147, v104
	v_mul_f16_e64 v147, 0xba62, v127
	v_add_f16_e64 v111, v148, v111
	v_add_f16_e64 v154, v154, v4
	v_mul_f16_e64 v160, 0x3bf7, v114
	v_mul_f16_e64 v164, 0xb964, v123
	v_fma_f16 v153, 0xb8d2, v53, v147
	v_mul_f16_e64 v167, 0xb1e1, v128
	v_mul_f16_e32 v105, 0xb836, v105
	v_mul_f16_e64 v172, 0x3b29, v103
	v_mul_f16_e64 v174, 0xbbf7, v102
	v_add_f16_e64 v111, v153, v111
	v_add_f16_e64 v153, v157, v154
	v_fma_f16 v154, 0x3b76, v21, v158
	v_mul_f16_e64 v157, 0xb836, v112
	v_fma_f16 v171, 0xbacd, v18, v105
	v_fma_f16 v173, 0x3722, v65, v172
	v_mul_f16_e64 v141, 0xb8d2, v109
	v_add_f16_e64 v153, v154, v153
	v_fma_f16 v154, 0xbacd, v23, v157
	v_add_f16_e64 v171, v171, v4
	v_mul_f16_e64 v159, 0xbacd, v109
	v_mul_f16_e32 v112, 0x3a62, v112
	v_fma_f16 v124, 0x3a62, v14, v141
	v_add_f16_e64 v153, v154, v153
	v_fma_f16 v154, 0x2de8, v25, v160
	v_mul_f16_e64 v138, 0xb461, v17
	v_fma_f16 v162, 0x3836, v14, v159
	v_mul_f16_e64 v163, 0x3722, v17
	v_fmac_f16_e64 v159, 0xb836, v14
	v_add_f16_e64 v153, v154, v153
	v_fma_f16 v154, 0x39e9, v36, v164
	v_mul_f16_e32 v114, 0xb5c8, v114
	v_add_f16_e32 v124, v124, v81
	v_fma_f16 v145, 0xbbb2, v20, v138
	v_mul_f16_e64 v146, 0x3b76, v110
	v_add_f16_e64 v153, v154, v153
	v_fma_f16 v154, 0xbbdd, v45, v167
	v_add_f16_e64 v162, v162, v81
	v_fma_f16 v165, 0xbb29, v20, v163
	v_mul_f16_e64 v166, 0x2de8, v110
	v_add_f16_e64 v159, v159, v81
	v_add_f16_e64 v153, v154, v153
	v_mul_f16_e64 v154, 0x3b29, v127
	v_fmac_f16_e64 v163, 0x3b29, v20
	v_mul_f16_e32 v123, 0xb1e1, v123
	v_add_f16_e64 v124, v145, v124
	v_fma_f16 v145, 0x35c8, v19, v146
	v_fma_f16 v170, 0x3722, v53, v154
	v_mul_f16_e64 v150, 0xbacd, v108
	v_add_f16_e64 v162, v165, v162
	v_fma_f16 v165, 0x3bf7, v19, v166
	v_add_f16_e64 v159, v163, v159
	v_add_f16_e64 v102, v170, v153
	;; [unrolled: 1-line block ×3, first 2 shown]
	v_fma_f16 v170, 0x2de8, v21, v174
	v_fmac_f16_e64 v166, 0xbbf7, v19
	v_fma_f16 v163, 0xbbdd, v36, v123
	v_mul_f16_e64 v128, 0x3964, v128
	v_fma_f16 v105, v18, 0xbacd, -v105
	v_add_f16_e64 v153, v170, v153
	v_fma_f16 v170, 0xb8d2, v23, v112
	v_add_f16_e64 v124, v145, v124
	v_fma_f16 v145, 0x3836, v22, v150
	v_mul_f16_e64 v148, 0x2de8, v107
	v_add_f16_e64 v159, v166, v159
	v_add_f16_e64 v153, v170, v153
	v_fma_f16 v170, 0x3b76, v25, v114
	v_add_f16_e32 v105, v105, v4
	v_fma_f16 v166, v65, 0x3722, -v172
	v_add_f16_e64 v124, v145, v124
	v_fma_f16 v145, 0xbbf7, v24, v148
	v_add_f16_e64 v153, v170, v153
	v_mul_f16_e64 v152, 0x39e9, v113
	v_add_f16_e64 v105, v166, v105
	v_mul_f16_e64 v156, 0xbbdd, v117
	v_add_f16_e64 v124, v145, v124
	v_add_f16_e64 v153, v163, v153
	v_fma_f16 v163, 0x39e9, v45, v128
	v_fma_f16 v145, 0x3964, v27, v152
	v_fmac_f16_e64 v141, 0xba62, v14
	v_fma_f16 v112, v23, 0xb8d2, -v112
	v_fmac_f16_e64 v138, 0x3bb2, v20
	v_add_f16_e64 v153, v163, v153
	v_fma_f16 v163, v21, 0x2de8, -v174
	v_add_f16_e64 v124, v145, v124
	v_fma_f16 v145, 0x31e1, v39, v156
	v_add_f16_e64 v141, v141, v81
	v_fmac_f16_e64 v146, 0xb5c8, v19
	v_add_f16_e64 v105, v163, v105
	v_mul_f16_e64 v168, 0xb8d2, v108
	v_add_f16_e64 v124, v145, v124
	v_mul_f16_e64 v145, 0x3722, v120
	v_add_f16_e64 v138, v138, v141
	v_add_f16_e32 v105, v112, v105
	v_fma_f16 v112, v25, 0x3b76, -v114
	v_fma_f16 v123, v36, 0xbbdd, -v123
	v_fma_f16 v161, 0xbb29, v44, v145
	v_add_f16_e64 v138, v146, v138
	v_fmac_f16_e64 v150, 0xb836, v22
	v_add_f16_e32 v105, v112, v105
	v_fma_f16 v112, v18, 0xb8d2, -v151
	v_fma_f16 v146, v65, 0xb461, -v155
	v_add_f16_e64 v124, v161, v124
	v_add_f16_e64 v161, v165, v162
	v_fma_f16 v162, 0xba62, v22, v168
	v_add_f16_e32 v112, v112, v4
	v_mul_f16_e64 v165, 0x3b76, v107
	v_fmac_f16_e64 v168, 0x3a62, v22
	v_add_f16_e32 v105, v123, v105
	v_add_f16_e64 v123, v150, v138
	v_fma_f16 v128, v45, 0x39e9, -v128
	v_add_f16_e64 v112, v146, v112
	v_fma_f16 v138, v21, 0x3b76, -v158
	v_add_f16_e64 v161, v162, v161
	v_fma_f16 v162, 0x35c8, v24, v165
	v_add_f16_e64 v159, v168, v159
	v_fmac_f16_e64 v165, 0xb5c8, v24
	v_mul_f16_e32 v127, 0xbbb2, v127
	v_add_f16_e64 v105, v128, v105
	v_add_f16_e64 v112, v138, v112
	v_fma_f16 v128, v23, 0xbacd, -v157
	v_add_f16_e64 v159, v165, v159
	v_fma_f16 v165, 0xb461, v53, v127
	v_fma_f16 v127, v53, 0xb461, -v127
	v_fmac_f16_e64 v129, 0xbbb2, v14
	v_add_f16_e64 v112, v128, v112
	v_fma_f16 v128, v25, 0x2de8, -v160
	v_fmac_f16_e64 v130, 0x3836, v20
	v_add_f16_e32 v105, v127, v105
	v_add_f16_e64 v127, v129, v81
	v_fma_f16 v129, v18, 0xb461, -v132
	v_add_f16_e64 v112, v128, v112
	v_fma_f16 v128, v36, 0x39e9, -v164
	v_fmac_f16_e64 v131, 0x3964, v19
	v_add_f16_e64 v127, v130, v127
	v_add_f16_e64 v129, v129, v4
	v_fma_f16 v130, v65, 0xbacd, -v135
	v_add_f16_e64 v112, v128, v112
	v_fma_f16 v128, v45, 0xbbdd, -v167
	v_add_f16_e64 v127, v131, v127
	v_fmac_f16_e64 v133, 0xbb29, v22
	v_fma_f16 v131, v53, 0x3722, -v154
	v_fmac_f16_e64 v134, 0xb1e1, v24
	v_add_f16_e64 v112, v128, v112
	v_add_f16_e64 v128, v130, v129
	v_fma_f16 v129, v21, 0x39e9, -v136
	v_add_f16_e64 v127, v133, v127
	v_fma_f16 v132, v23, 0x3722, -v139
	v_add_f16_e64 v112, v131, v112
	v_mul_f16_e64 v131, 0x2de8, v109
	v_add_f16_e64 v128, v129, v128
	v_add_f16_e64 v127, v134, v127
	v_fma_f16 v134, v25, 0xbbdd, -v137
	v_fma_f16 v135, v36, 0x2de8, -v142
	v_add_f16_e64 v115, v115, v131
	v_add_f16_e64 v128, v132, v128
	v_mul_f16_e64 v132, 0xbbdd, v17
	v_fma_f16 v137, v45, 0x3b76, -v143
	v_fma_f16 v139, v53, 0xb8d2, -v147
	v_add_f16_e32 v115, v115, v81
	v_add_f16_e64 v128, v134, v128
	v_add_f16_e64 v116, v116, v132
	v_mul_f16_e64 v134, 0xb461, v110
	v_mul_f16_e64 v132, 0x2de8, v18
	;; [unrolled: 1-line block ×3, first 2 shown]
	v_add_f16_e64 v128, v135, v128
	v_add_f16_e32 v115, v116, v115
	v_add_f16_e64 v118, v118, v134
	v_mul_f16_e64 v135, 0x3b76, v108
	v_mul_f16_e32 v116, 0x39e9, v65
	v_add_f16_e64 v128, v137, v128
	v_mul_f16_e64 v137, 0x3722, v107
	v_add_f16_e32 v115, v118, v115
	v_add_f16_e64 v119, v119, v135
	v_mul_f16_e32 v65, 0xbbdd, v65
	v_add_f16_e64 v128, v139, v128
	v_add_f16_e64 v122, v122, v137
	v_mul_f16_e64 v139, 0xbacd, v113
	v_add_f16_e32 v115, v119, v115
	v_sub_f16_e64 v61, v132, v61
	v_mul_f16_e64 v137, 0xb461, v21
	v_sub_f16_e32 v62, v65, v62
	v_add_f16_e64 v121, v121, v139
	v_add_f16_e32 v115, v122, v115
	v_mul_f16_e64 v139, 0xb8d2, v117
	v_add_f16_e32 v61, v61, v4
	v_alignbit_b32 v130, v4, v4, 16
	v_mul_f16_e64 v133, 0x39e9, v109
	v_mul_f16_e32 v109, 0x3722, v109
	v_mul_f16_e32 v65, 0x3b76, v23
	v_add_f16_e32 v115, v121, v115
	v_add_f16_e64 v125, v125, v139
	v_add_f16_e32 v61, v62, v61
	v_sub_f16_e64 v68, v137, v68
	v_alignbit_b32 v57, v57, v57, 16
	v_mul_f16_e32 v118, 0xb8d2, v17
	v_add_f16_e32 v115, v125, v115
	v_mul_f16_e32 v125, 0x3722, v25
	v_add_f16_e32 v61, v68, v61
	v_sub_f16_e32 v65, v65, v71
	v_add_f16_e32 v95, v95, v109
	v_pk_add_f16 v5, v5, v130 op_sel:[0,1] op_sel_hi:[1,0]
	v_mul_f16_e64 v138, 0xb8d2, v110
	v_mul_f16_e32 v110, 0xbbdd, v110
	v_mul_f16_e32 v109, 0xbacd, v36
	v_add_f16_e32 v61, v65, v61
	v_sub_f16_e32 v74, v125, v74
	v_add_f16_e32 v95, v95, v81
	v_add_f16_e32 v96, v96, v118
	v_pk_add_f16 v5, v57, v5
	v_mul_f16_e64 v131, 0x3722, v18
	v_add_f16_e32 v61, v74, v61
	v_mul_f16_e32 v74, 0xb8d2, v45
	v_add_f16_e32 v95, v96, v95
	v_add_f16_e32 v97, v97, v110
	v_sub_f16_e32 v76, v109, v76
	v_pk_add_f16 v5, v15, v5
	v_sub_f16_e64 v52, v131, v52
	v_sub_f16_e32 v74, v74, v78
	v_add_f16_e32 v95, v97, v95
	v_mul_f16_e32 v97, 0x39e9, v53
	v_add_f16_e32 v61, v76, v61
	v_pk_add_f16 v5, v10, v5
	v_mul_f16_e32 v119, 0xbbdd, v21
	v_add_f16_e32 v52, v52, v4
	v_sub_f16_e64 v54, v136, v54
	v_add_f16_e32 v61, v74, v61
	v_sub_f16_e32 v74, v97, v84
	v_pk_add_f16 v5, v11, v5
	v_mul_f16_e64 v129, 0x3b76, v18
	v_mul_f16_e64 v134, 0x2de8, v17
	;; [unrolled: 1-line block ×3, first 2 shown]
	v_add_f16_e32 v52, v54, v52
	v_sub_f16_e32 v54, v119, v58
	v_add_f16_e32 v58, v74, v61
	v_add_f16_e64 v61, v80, v133
	v_pk_add_f16 v5, v12, v5
	v_mul_f16_e64 v137, 0x39e9, v25
	v_add_f16_e32 v52, v54, v52
	v_sub_f16_e64 v54, v132, v60
	v_add_f16_e32 v60, v61, v81
	v_add_f16_e64 v61, v82, v134
	v_sub_f16_e64 v10, v129, v35
	v_pk_add_f16 v5, v13, v5
	v_fmac_f16_e64 v140, 0x3bf7, v27
	v_mul_f16_e64 v135, 0x3722, v21
	v_mul_f16_e32 v122, 0xbbdd, v108
	v_add_f16_e32 v52, v54, v52
	v_sub_f16_e64 v54, v137, v59
	v_add_f16_e32 v59, v61, v60
	v_add_f16_e64 v57, v75, v138
	v_add_f16_e32 v4, v10, v4
	v_sub_f16_e32 v10, v116, v34
	v_pk_add_f16 v5, v8, v5
	v_add_f16_e64 v127, v140, v127
	v_mul_f16_e64 v140, 0x2de8, v23
	v_mul_f16_e64 v139, 0xbacd, v107
	v_add_f16_e32 v15, v57, v59
	v_add_f16_e32 v57, v77, v122
	;; [unrolled: 1-line block ×3, first 2 shown]
	v_sub_f16_e64 v10, v135, v38
	v_pk_add_f16 v5, v9, v5
	v_mul_f16_e32 v121, 0xb461, v25
	v_mul_f16_e32 v62, 0x39e9, v120
	;; [unrolled: 1-line block ×3, first 2 shown]
	v_add_f16_e32 v15, v57, v15
	v_add_f16_e64 v35, v79, v139
	v_add_f16_e32 v4, v10, v4
	v_sub_f16_e64 v10, v140, v41
	v_pk_add_f16 v5, v6, v5
	v_add_f16_e32 v62, v126, v62
	v_mul_f16_e32 v126, 0xb8d2, v36
	v_mul_f16_e32 v125, 0x3722, v117
	v_add_f16_e32 v11, v35, v15
	v_add_f16_e32 v15, v83, v68
	;; [unrolled: 1-line block ×3, first 2 shown]
	v_sub_f16_e32 v9, v121, v43
	v_pk_add_f16 v5, v7, v5
	v_mul_f16_e32 v65, 0xbacd, v45
	v_mul_f16_e32 v110, 0x3b76, v120
	v_add_f16_e32 v11, v15, v11
	v_add_f16_e32 v13, v92, v125
	;; [unrolled: 1-line block ×3, first 2 shown]
	v_sub_f16_e32 v6, v126, v56
	v_pk_add_f16 v2, v2, v5
	v_mul_f16_e32 v96, 0xbbdd, v53
	v_add_f16_e32 v8, v13, v11
	v_add_f16_e32 v11, v94, v110
	v_bfi_b32 v10, 0xffff, v26, v85
	v_add_f16_e32 v4, v6, v4
	v_sub_f16_e32 v6, v65, v63
	v_pk_add_f16 v2, v3, v2
	v_mul_f16_e32 v71, 0x3b76, v36
	v_add_f16_e32 v8, v11, v8
	v_bfi_b32 v11, 0xffff, v33, v86
	v_add_f16_e32 v4, v6, v4
	v_sub_f16_e32 v6, v96, v67
	v_and_b32_e32 v3, 0xffff, v51
	v_pk_add_f16 v10, v10, v130
	v_pk_mul_f16 v18, 0xbbdd, v18 op_sel_hi:[0,1]
	v_pk_add_f16 v0, v0, v2
	v_mul_f16_e32 v118, 0x2de8, v45
	v_add_f16_e32 v52, v54, v52
	v_sub_f16_e32 v54, v71, v70
	v_bfi_b32 v9, 0xffff, v40, v87
	v_add_f16_e32 v4, v6, v4
	v_lshlrev_b32_e32 v2, 2, v3
	v_pk_add_f16 v3, v11, v10
	v_pk_fma_f16 v6, 0xb1e1, v14, v18 op_sel:[0,0,1] op_sel_hi:[0,1,0] neg_lo:[0,1,0] neg_hi:[0,1,0]
	v_pk_mul_f16 v10, 0x35c8, v20 op_sel_hi:[0,1]
	v_pk_add_f16 v0, v1, v0
	v_pk_fma_f16 v1, 0xb1e1, v14, v18 op_sel:[0,0,1] op_sel_hi:[0,1,0]
	v_mul_f16_e32 v109, 0xbacd, v53
	v_add_f16_e32 v52, v54, v52
	v_sub_f16_e32 v54, v118, v72
	v_bfi_b32 v13, 0xffff, v46, v88
	v_pk_add_f16 v3, v9, v3
	v_pk_add_f16 v6, v6, v130
	v_pk_fma_f16 v9, 0x3b76, v17, v10 op_sel_hi:[0,1,1] neg_lo:[0,0,1] neg_hi:[0,0,1]
	v_pk_mul_f16 v11, 0xbacd, v21 op_sel_hi:[0,1]
	v_pk_add_f16 v1, v1, v130
	v_pk_fma_f16 v10, 0x3b76, v17, v10 op_sel_hi:[0,1,1]
	v_mul_f16_e32 v108, 0xb461, v108
	v_mul_f16_e64 v169, 0xbbdd, v113
	v_add_f16_e32 v12, v54, v52
	v_sub_f16_e32 v15, v109, v73
	v_bfi_b32 v7, 0xffff, v55, v89
	v_pk_add_f16 v3, v13, v3
	v_pk_add_f16 v6, v9, v6
	v_pk_fma_f16 v9, 0xb836, v19, v11 op_sel:[0,0,1] op_sel_hi:[0,1,0] neg_lo:[0,1,0] neg_hi:[0,1,0]
	v_pk_mul_f16 v13, 0x39e9, v23 op_sel_hi:[0,1]
	v_pk_add_f16 v1, v10, v1
	v_pk_fma_f16 v10, 0xb836, v19, v11 op_sel:[0,0,1] op_sel_hi:[0,1,0]
	v_mul_f16_e32 v107, 0x39e9, v107
	v_add_f16_e32 v98, v98, v108
	v_add_f16_e64 v103, v162, v161
	v_fma_f16 v161, 0x31e1, v27, v169
	v_mul_f16_e64 v162, 0x39e9, v117
	v_add_f16_e32 v12, v15, v12
	v_bfi_b32 v15, 0xffff, v64, v90
	v_pk_add_f16 v3, v7, v3
	v_pk_add_f16 v6, v9, v6
	v_pk_fma_f16 v7, 0x3964, v22, v13 op_sel:[0,0,1] op_sel_hi:[0,1,0] neg_lo:[0,1,0] neg_hi:[0,1,0]
	v_pk_mul_f16 v9, 0xb8d2, v25 op_sel_hi:[0,1]
	v_pk_add_f16 v1, v10, v1
	v_pk_fma_f16 v10, 0x3964, v22, v13 op_sel:[0,0,1] op_sel_hi:[0,1,0]
	v_mul_f16_e32 v113, 0x3b76, v113
	v_add_f16_e32 v76, v98, v95
	v_add_f16_e32 v78, v99, v107
	v_fmac_f16_e64 v148, 0x3bf7, v24
	v_add_f16_e64 v103, v161, v103
	v_fma_f16 v161, 0xb964, v39, v162
	v_fmac_f16_e64 v169, 0xb1e1, v27
	v_bfi_b32 v5, 0xffff, v66, v91
	v_pk_add_f16 v3, v15, v3
	v_pk_add_f16 v6, v7, v6
	v_pk_fma_f16 v7, 0xba62, v24, v9 op_sel:[0,0,1] op_sel_hi:[0,1,0] neg_lo:[0,1,0] neg_hi:[0,1,0]
	v_pk_mul_f16 v11, 0x3722, v36 op_sel_hi:[0,1]
	v_pk_add_f16 v1, v10, v1
	v_pk_fma_f16 v9, 0xba62, v24, v9 op_sel:[0,0,1] op_sel_hi:[0,1,0]
	v_mul_f16_e32 v117, 0x2de8, v117
	v_add_f16_e32 v76, v78, v76
	v_add_f16_e32 v78, v101, v113
	v_add_f16_e64 v123, v148, v123
	v_fmac_f16_e64 v152, 0xb964, v27
	v_add_f16_e64 v103, v161, v103
	v_mul_f16_e64 v161, 0xb461, v120
	v_add_f16_e64 v159, v169, v159
	v_fmac_f16_e64 v162, 0x3964, v39
	v_pk_add_f16 v3, v5, v3
	v_pk_add_f16 v5, v7, v6
	v_pk_fma_f16 v6, 0x3b29, v27, v11 op_sel:[0,0,1] op_sel_hi:[0,1,0] neg_lo:[0,1,0] neg_hi:[0,1,0]
	v_pk_mul_f16 v7, 0xb461, v45 op_sel_hi:[0,1]
	v_pk_add_f16 v1, v9, v1
	v_pk_fma_f16 v9, 0x3b29, v27, v11 op_sel:[0,0,1] op_sel_hi:[0,1,0]
	v_mul_f16_e32 v120, 0xbacd, v120
	v_add_f16_e32 v74, v78, v76
	v_add_f16_e32 v76, v106, v117
	v_add_f16_e64 v123, v152, v123
	v_fmac_f16_e64 v156, 0xb1e1, v39
	v_fmac_f16_e64 v144, 0xb5c8, v39
	v_fma_f16 v171, 0x3bb2, v44, v161
	v_add_f16_e64 v141, v162, v159
	v_fmac_f16_e64 v161, 0xbbb2, v44
	v_pk_add_f16 v5, v6, v5
	v_pk_fma_f16 v6, 0xbbb2, v39, v7 op_sel:[0,0,1] op_sel_hi:[0,1,0] neg_lo:[0,1,0] neg_hi:[0,1,0]
	v_pk_mul_f16 v10, 0x2de8, v53 op_sel_hi:[0,1]
	v_pk_add_f16 v1, v9, v1
	v_pk_fma_f16 v7, 0xbbb2, v39, v7 op_sel:[0,0,1] op_sel_hi:[0,1,0]
	v_bfi_b32 v26, 0xffff, v69, v93
	v_add_f16_e32 v74, v76, v74
	v_add_f16_e32 v60, v100, v120
	v_add_f16_e64 v123, v156, v123
	v_fmac_f16_e64 v145, 0x3b29, v44
	v_add_f16_e64 v127, v144, v127
	v_fmac_f16_e64 v149, 0xba62, v44
	v_add_f16_e64 v141, v161, v141
	v_pk_add_f16 v5, v6, v5
	v_pk_fma_f16 v6, 0x3bf7, v44, v10 op_sel:[0,0,1] op_sel_hi:[0,1,0] neg_lo:[0,1,0] neg_hi:[0,1,0]
	v_pk_add_f16 v1, v7, v1
	v_pk_fma_f16 v7, 0x3bf7, v44, v10 op_sel:[0,0,1] op_sel_hi:[0,1,0]
	v_pk_add_f16 v3, v26, v3
	v_add_f16_e32 v62, v62, v115
	v_add_f16_e32 v59, v60, v74
	v_add_f16_e64 v123, v145, v123
	v_add_f16_e64 v127, v149, v127
	v_pk_add_f16 v0, v16, v0
	v_pack_b32_f16 v9, v105, v141
	v_pk_add_f16 v5, v6, v5
	v_pk_add_f16 v1, v7, v1
	v_add_f16_e64 v103, v171, v103
	v_add_f16_e64 v114, v165, v153
	v_alignbit_b32 v8, v8, v3, 16
	v_pack_b32_f16 v3, v4, v3
	v_pack_b32_f16 v4, v58, v62
	;; [unrolled: 1-line block ×5, first 2 shown]
	ds_store_2addr_b32 v2, v0, v9 offset1:7
	v_alignbit_b32 v0, v5, v1, 16
	v_alignbit_b32 v1, v1, v5, 16
	v_pack_b32_f16 v5, v102, v124
	v_pack_b32_f16 v9, v114, v103
	v_pack_b32_f16 v11, v111, v104
	v_perm_b32 v12, v48, v31, 0x5040100
	v_perm_b32 v13, v37, v29, 0x5040100
	;; [unrolled: 1-line block ×4, first 2 shown]
	ds_store_2addr_b32 v2, v3, v8 offset0:1 offset1:2
	ds_store_2addr_b32 v2, v6, v4 offset0:3 offset1:4
	;; [unrolled: 1-line block ×7, first 2 shown]
	ds_store_b32 v2, v15 offset:64
.LBB0_7:
	s_wait_alu 0xfffe
	s_or_b32 exec_lo, exec_lo, s0
	v_and_b32_e32 v0, 0xff, v50
	s_load_b128 s[4:7], s[4:5], 0x0
	global_wb scope:SCOPE_SE
	s_wait_dscnt 0x0
	s_wait_kmcnt 0x0
	s_barrier_signal -1
	s_barrier_wait -1
	v_mul_lo_u16 v0, 0xf1, v0
	global_inv scope:SCOPE_SE
	v_add_nc_u32_e32 v2, 0x400, v49
	v_add_nc_u32_e32 v5, 0x800, v49
	;; [unrolled: 1-line block ×3, first 2 shown]
	v_lshrrev_b16 v4, 12, v0
	v_add_nc_u32_e32 v7, 0x1200, v49
	v_cmp_gt_u16_e64 s0, 0x44, v50
	s_delay_alu instid0(VALU_DEP_3) | instskip(SKIP_1) | instid1(VALU_DEP_2)
	v_mul_lo_u16 v0, v4, 17
	v_and_b32_e32 v4, 0xffff, v4
	v_sub_nc_u16 v0, v50, v0
	s_delay_alu instid0(VALU_DEP_2) | instskip(NEXT) | instid1(VALU_DEP_2)
	v_mul_u32_u24_e32 v4, 0xdd, v4
	v_and_b32_e32 v3, 0xff, v0
	s_delay_alu instid0(VALU_DEP_1) | instskip(NEXT) | instid1(VALU_DEP_1)
	v_mul_u32_u24_e32 v0, 12, v3
	v_lshlrev_b32_e32 v0, 2, v0
	s_clause 0x2
	global_load_b128 v[16:19], v0, s[2:3]
	global_load_b128 v[12:15], v0, s[2:3] offset:16
	global_load_b128 v[8:11], v0, s[2:3] offset:32
	ds_load_2addr_b32 v[0:1], v49 offset1:153
	ds_load_b32 v41, v49 offset:7344
	ds_load_2addr_b32 v[25:26], v2 offset0:50 offset1:203
	v_add_nc_u32_e32 v2, 0x1700, v49
	ds_load_2addr_b32 v[33:34], v5 offset0:100 offset1:253
	ds_load_2addr_b32 v[43:44], v6 offset0:22 offset1:175
	;; [unrolled: 1-line block ×4, first 2 shown]
	global_wb scope:SCOPE_SE
	s_wait_loadcnt_dscnt 0x0
	s_barrier_signal -1
	s_barrier_wait -1
	global_inv scope:SCOPE_SE
	v_lshrrev_b32_e32 v57, 16, v41
	v_lshrrev_b32_e32 v7, 16, v1
	;; [unrolled: 1-line block ×18, first 2 shown]
	v_mul_f16_e32 v40, v7, v71
	v_mul_f16_e32 v75, v1, v71
	;; [unrolled: 1-line block ×4, first 2 shown]
	v_lshrrev_b32_e32 v68, 16, v19
	v_fma_f16 v89, v1, v16, -v40
	v_lshrrev_b32_e32 v55, 16, v8
	v_mul_f16_e32 v77, v25, v70
	v_mul_f16_e32 v78, v39, v69
	;; [unrolled: 1-line block ×4, first 2 shown]
	v_fmac_f16_e32 v75, v7, v16
	v_fma_f16 v76, v25, v17, -v76
	v_fma_f16 v25, v41, v11, -v88
	v_add_f16_e32 v41, v0, v89
	v_lshrrev_b32_e32 v67, 16, v12
	v_lshrrev_b32_e32 v56, 16, v15
	;; [unrolled: 1-line block ×4, first 2 shown]
	v_mul_f16_e32 v79, v26, v69
	v_mul_f16_e32 v80, v61, v68
	;; [unrolled: 1-line block ×4, first 2 shown]
	v_fmac_f16_e32 v77, v27, v17
	v_fma_f16 v78, v26, v18, -v78
	v_fma_f16 v1, v43, v13, -v82
	v_add_f16_e32 v43, v35, v75
	v_add_f16_e32 v41, v41, v76
	v_lshrrev_b32_e32 v58, 16, v14
	v_mul_f16_e32 v38, v33, v68
	v_mul_f16_e32 v81, v62, v67
	;; [unrolled: 1-line block ×7, first 2 shown]
	v_fmac_f16_e32 v79, v39, v18
	v_fma_f16 v40, v33, v19, -v80
	v_fma_f16 v33, v46, v8, -v85
	v_fmac_f16_e32 v23, v57, v11
	v_add_f16_e32 v43, v43, v77
	v_add_f16_e32 v41, v41, v78
	v_mul_f16_e32 v36, v34, v67
	v_mul_f16_e32 v83, v64, v58
	;; [unrolled: 1-line block ×4, first 2 shown]
	v_fmac_f16_e32 v38, v61, v19
	v_fma_f16 v39, v34, v12, -v81
	v_fma_f16 v34, v45, v15, -v84
	v_fmac_f16_e32 v20, v72, v8
	v_fmac_f16_e32 v21, v73, v9
	v_fma_f16 v26, v60, v10, -v87
	v_fmac_f16_e32 v22, v74, v10
	v_add_f16_e32 v45, v75, v23
	v_sub_f16_e32 v46, v89, v25
	v_sub_f16_e32 v57, v75, v23
	v_add_f16_e32 v73, v40, v33
	v_sub_f16_e32 v75, v40, v33
	v_add_f16_e32 v43, v43, v79
	v_add_f16_e32 v40, v41, v40
	v_mul_f16_e32 v6, v44, v58
	v_fmac_f16_e32 v36, v62, v12
	v_fma_f16 v7, v44, v14, -v83
	v_fmac_f16_e32 v24, v66, v15
	v_fma_f16 v27, v59, v9, -v86
	v_add_f16_e32 v44, v89, v25
	v_add_f16_e32 v59, v76, v26
	;; [unrolled: 1-line block ×3, first 2 shown]
	v_sub_f16_e32 v61, v76, v26
	v_sub_f16_e32 v62, v77, v22
	v_add_f16_e32 v74, v38, v20
	v_sub_f16_e32 v80, v38, v20
	v_add_f16_e32 v81, v39, v34
	v_sub_f16_e32 v83, v39, v34
	v_mul_f16_e32 v76, 0xb770, v57
	v_mul_f16_e32 v77, 0xb770, v46
	;; [unrolled: 1-line block ×5, first 2 shown]
	v_add_f16_e32 v38, v43, v38
	v_add_f16_e32 v39, v40, v39
	v_fmac_f16_e32 v5, v63, v13
	v_fmac_f16_e32 v6, v64, v14
	v_add_f16_e32 v63, v78, v27
	v_add_f16_e32 v64, v79, v21
	v_sub_f16_e32 v66, v78, v27
	v_sub_f16_e32 v72, v79, v21
	v_add_f16_e32 v82, v36, v24
	v_sub_f16_e32 v84, v36, v24
	v_mul_f16_e32 v86, 0xba95, v46
	v_mul_f16_e32 v88, 0xbbf1, v46
	;; [unrolled: 1-line block ×12, first 2 shown]
	v_fma_f16 v78, v44, 0x3b15, -v76
	v_fmamk_f16 v79, v45, 0x3b15, v77
	v_fmac_f16_e32 v76, 0x3b15, v44
	v_fma_f16 v133, v44, 0x388b, -v85
	v_fmac_f16_e32 v85, 0x388b, v44
	v_fma_f16 v135, v44, 0x2fb7, -v87
	v_fma_f16 v137, v44, 0xb5ac, -v89
	v_add_f16_e32 v36, v38, v36
	v_add_f16_e32 v39, v39, v1
	v_mul_f16_e32 v96, 0xbb7b, v61
	v_mul_f16_e32 v98, 0xb3a8, v61
	;; [unrolled: 1-line block ×9, first 2 shown]
	v_fma_f16 v77, v45, 0x3b15, -v77
	v_fma_f16 v134, 0x388b, v45, v86
	v_fma_f16 v86, v45, 0x388b, -v86
	v_fma_f16 v136, 0x2fb7, v45, v88
	v_fmac_f16_e32 v87, 0x2fb7, v44
	v_fma_f16 v88, v45, 0x2fb7, -v88
	v_fma_f16 v138, 0xb5ac, v45, v90
	v_fmac_f16_e32 v89, 0xb5ac, v44
	v_fma_f16 v90, v45, 0xb5ac, -v90
	v_fma_f16 v139, v44, 0xb9fd, -v91
	v_fma_f16 v140, 0xb9fd, v45, v92
	v_fmac_f16_e32 v91, 0xb9fd, v44
	v_fma_f16 v92, v45, 0xb9fd, -v92
	;; [unrolled: 4-line block ×3, first 2 shown]
	v_fma_f16 v45, v59, 0x388b, -v93
	v_fmamk_f16 v46, v60, 0x388b, v94
	v_fmac_f16_e32 v93, 0x388b, v59
	v_fma_f16 v143, v59, 0xb5ac, -v95
	v_fmac_f16_e32 v95, 0xb5ac, v59
	v_fma_f16 v145, v59, 0xbbc4, -v97
	v_fma_f16 v147, v59, 0xb9fd, -v99
	v_add_f16_e32 v41, v0, v78
	v_add_f16_e32 v43, v35, v79
	v_add_f16_e32 v76, v0, v76
	v_add_f16_e64 v78, v0, v133
	v_add_f16_e32 v85, v0, v85
	v_add_f16_e64 v133, v0, v135
	v_add_f16_e64 v135, v0, v137
	v_add_f16_e32 v36, v36, v5
	v_add_f16_e32 v39, v39, v7
	v_mul_f16_e32 v103, 0xbbf1, v72
	v_mul_f16_e32 v104, 0xbbf1, v66
	;; [unrolled: 1-line block ×11, first 2 shown]
	v_fma_f16 v144, 0xb5ac, v60, v96
	v_fma_f16 v146, 0xbbc4, v60, v98
	v_fmac_f16_e32 v97, 0xbbc4, v59
	v_fma_f16 v98, v60, 0xbbc4, -v98
	v_fma_f16 v148, 0xb9fd, v60, v100
	v_fmac_f16_e32 v99, 0xb9fd, v59
	v_fma_f16 v100, v60, 0xb9fd, -v100
	v_fma_f16 v149, v59, 0x2fb7, -v101
	v_fmac_f16_e32 v101, 0x2fb7, v59
	v_fma_f16 v151, v59, 0x3b15, -v62
	v_fmac_f16_e32 v62, 0x3b15, v59
	v_fma_f16 v59, v60, 0x3b15, -v61
	v_fma_f16 v155, v63, 0xb5ac, -v107
	;; [unrolled: 1-line block ×3, first 2 shown]
	v_add_f16_e32 v77, v35, v77
	v_add_f16_e64 v79, v35, v134
	v_add_f16_e32 v86, v35, v86
	v_add_f16_e64 v134, v35, v136
	v_add_f16_e32 v87, v0, v87
	v_add_f16_e32 v88, v35, v88
	v_add_f16_e64 v136, v35, v138
	v_add_f16_e32 v89, v0, v89
	;; [unrolled: 3-line block ×3, first 2 shown]
	v_add_f16_e64 v140, v35, v142
	v_add_f16_e32 v35, v35, v44
	v_add_f16_e32 v38, v45, v41
	;; [unrolled: 1-line block ×5, first 2 shown]
	v_add_f16_e64 v76, v145, v133
	v_add_f16_e64 v85, v147, v135
	v_add_f16_e32 v36, v36, v6
	v_add_f16_e32 v34, v39, v34
	v_mul_f16_e32 v114, 0xbb7b, v75
	v_mul_f16_e32 v120, 0xbbf1, v75
	v_mul_f16_e64 v129, 0x33a8, v84
	v_fma_f16 v94, v60, 0x388b, -v94
	v_fma_f16 v96, v60, 0xb5ac, -v96
	v_fma_f16 v150, 0x2fb7, v60, v102
	v_fma_f16 v102, v60, 0x2fb7, -v102
	v_fma_f16 v152, 0x3b15, v60, v61
	v_fma_f16 v60, v63, 0x2fb7, -v103
	v_fmamk_f16 v61, v64, 0x2fb7, v104
	v_fmac_f16_e32 v103, 0x2fb7, v63
	v_fma_f16 v153, v63, 0xbbc4, -v105
	v_fmac_f16_e32 v105, 0xbbc4, v63
	v_fma_f16 v156, 0xb5ac, v64, v108
	v_fmac_f16_e32 v107, 0xb5ac, v63
	v_fma_f16 v108, v64, 0xb5ac, -v108
	v_fma_f16 v158, 0x3b15, v64, v110
	v_fmac_f16_e32 v109, 0x3b15, v63
	v_fma_f16 v110, v64, 0x3b15, -v110
	v_fma_f16 v159, v63, 0x388b, -v111
	v_fmac_f16_e32 v111, 0x388b, v63
	v_fma_f16 v161, v63, 0xb9fd, -v72
	v_fmac_f16_e32 v72, 0xb9fd, v63
	v_fma_f16 v63, v64, 0xb9fd, -v66
	v_fma_f16 v167, v73, 0x2fb7, -v119
	v_add_f16_e64 v137, v0, v139
	v_add_f16_e32 v91, v0, v91
	v_add_f16_e64 v139, v0, v141
	v_add_f16_e32 v0, v0, v57
	v_add_f16_e64 v44, v143, v78
	v_add_f16_e64 v45, v144, v79
	v_add_f16_e32 v78, v97, v87
	v_add_f16_e32 v79, v98, v88
	;; [unrolled: 1-line block ×5, first 2 shown]
	v_add_f16_e64 v59, v155, v76
	v_add_f16_e64 v76, v157, v85
	v_add_f16_e32 v24, v36, v24
	v_add_f16_e32 v33, v34, v33
	v_mul_f16_e32 v113, 0xbb7b, v80
	v_mul_f16_e32 v116, 0x394e, v75
	v_mul_f16_e64 v130, 0x33a8, v83
	v_fma_f16 v104, v64, 0x2fb7, -v104
	v_fma_f16 v154, 0xbbc4, v64, v106
	v_fma_f16 v106, v64, 0xbbc4, -v106
	v_fma_f16 v162, 0xb9fd, v64, v66
	v_fmamk_f16 v66, v74, 0xb5ac, v114
	v_fma_f16 v168, 0x2fb7, v74, v120
	v_fmac_f16_e32 v119, 0x2fb7, v73
	v_fma_f16 v120, v74, 0x2fb7, -v120
	v_fma_f16 v177, v81, 0xbbc4, -v129
	v_add_f16_e32 v43, v94, v77
	v_add_f16_e32 v57, v96, v86
	v_add_f16_e64 v77, v146, v134
	v_add_f16_e64 v86, v148, v136
	v_add_f16_e32 v0, v62, v0
	v_add_f16_e32 v40, v61, v40
	;; [unrolled: 1-line block ×7, first 2 shown]
	v_add_f16_e64 v63, v167, v76
	v_add_f16_e32 v20, v24, v20
	v_add_f16_e32 v27, v33, v27
	v_mul_f16_e32 v115, 0x394e, v80
	v_mul_f16_e32 v117, 0x3770, v80
	v_mul_f16_e32 v118, 0x3770, v75
	v_mul_f16_e32 v121, 0x33a8, v80
	v_mul_f16_e32 v122, 0x33a8, v75
	v_mul_f16_e32 v80, 0x3a95, v80
	v_mul_f16_e32 v75, 0x3a95, v75
	v_mul_f16_e32 v123, 0xb94e, v84
	v_mul_f16_e32 v124, 0xb94e, v83
	v_mul_f16_e32 v126, 0x3bf1, v83
	v_fma_f16 v160, 0x388b, v64, v112
	v_fma_f16 v112, v64, 0x388b, -v112
	v_fma_f16 v64, v73, 0xb5ac, -v113
	;; [unrolled: 1-line block ×3, first 2 shown]
	v_fma_f16 v164, 0xb9fd, v74, v116
	v_fma_f16 v116, v74, 0xb9fd, -v116
	v_fma_f16 v178, 0xbbc4, v82, v130
	v_fmac_f16_e64 v129, 0xbbc4, v81
	v_fma_f16 v130, v82, 0xbbc4, -v130
	v_add_f16_e32 v38, v60, v38
	v_add_f16_e32 v43, v104, v43
	v_add_f16_e64 v45, v154, v45
	v_add_f16_e32 v57, v106, v57
	v_add_f16_e64 v60, v156, v77
	v_add_f16_e64 v77, v158, v86
	v_add_f16_e32 v0, v72, v0
	v_add_f16_e32 v40, v66, v40
	;; [unrolled: 1-line block ×5, first 2 shown]
	v_add_f16_e64 v33, v177, v63
	v_add_f16_e32 v26, v27, v26
	v_sub_f16_e32 v63, v5, v6
	v_fmac_f16_e32 v113, 0xb5ac, v73
	v_fma_f16 v163, v73, 0xb9fd, -v115
	v_fmac_f16_e32 v115, 0xb9fd, v73
	v_fma_f16 v165, v73, 0x3b15, -v117
	v_fma_f16 v166, 0x3b15, v74, v118
	v_fmac_f16_e32 v117, 0x3b15, v73
	v_fma_f16 v118, v74, 0x3b15, -v118
	v_fma_f16 v169, v73, 0xbbc4, -v121
	v_fma_f16 v170, 0xbbc4, v74, v122
	v_fmac_f16_e32 v121, 0xbbc4, v73
	v_fma_f16 v122, v74, 0xbbc4, -v122
	;; [unrolled: 4-line block ×3, first 2 shown]
	v_fma_f16 v74, v81, 0xb9fd, -v123
	v_fmamk_f16 v75, v82, 0xb9fd, v124
	v_fma_f16 v124, v82, 0xb9fd, -v124
	v_fma_f16 v174, 0x2fb7, v82, v126
	v_fma_f16 v126, v82, 0x2fb7, -v126
	v_add_f16_e32 v38, v64, v38
	v_add_f16_e32 v43, v114, v43
	v_add_f16_e64 v45, v164, v45
	v_add_f16_e32 v57, v116, v57
	v_add_f16_e64 v64, v168, v77
	;; [unrolled: 2-line block ×3, first 2 shown]
	v_add_f16_e64 v27, v130, v72
	v_add_f16_e32 v25, v26, v25
	v_mul_f16_e32 v26, 0xbb7b, v83
	v_add_f16_e32 v66, v1, v7
	v_mul_f16_e32 v72, 0xb3a8, v63
	v_sub_f16_e32 v1, v1, v7
	v_mul_f16_e32 v125, 0x3bf1, v84
	v_mul_f16_e64 v128, 0xba95, v83
	v_add_f16_e32 v41, v103, v41
	v_add_f16_e64 v44, v153, v44
	v_add_f16_e32 v46, v105, v46
	v_add_f16_e32 v35, v73, v35
	;; [unrolled: 1-line block ×5, first 2 shown]
	v_add_f16_e64 v43, v174, v45
	v_add_f16_e32 v45, v126, v57
	v_add_f16_e64 v57, v178, v64
	v_fmamk_f16 v64, v82, 0xb5ac, v26
	v_fma_f16 v7, v82, 0xb5ac, -v26
	v_fma_f16 v26, v66, 0xbbc4, -v72
	v_add_f16_e32 v5, v5, v6
	v_mul_f16_e32 v6, 0xb3a8, v1
	v_mul_f16_e32 v127, 0xba95, v84
	v_mul_f16_e64 v132, 0x3770, v83
	v_fmac_f16_e32 v123, 0xb9fd, v81
	v_fma_f16 v173, v81, 0x2fb7, -v125
	v_fmac_f16_e32 v125, 0x2fb7, v81
	v_fma_f16 v176, 0x388b, v82, v128
	v_add_f16_e32 v41, v113, v41
	v_add_f16_e64 v44, v163, v44
	v_add_f16_e32 v46, v115, v46
	v_add_f16_e64 v60, v166, v60
	v_add_f16_e32 v7, v7, v35
	v_add_f16_e32 v26, v26, v36
	v_mul_f16_e32 v35, 0x3770, v63
	v_fmamk_f16 v36, v5, 0xbbc4, v6
	v_fma_f16 v6, v5, 0xbbc4, -v6
	v_mul_f16_e32 v73, 0x3770, v1
	v_fma_f16 v175, v81, 0x388b, -v127
	v_fma_f16 v128, v82, 0x388b, -v128
	v_fma_f16 v180, 0x3b15, v82, v132
	v_add_f16_e32 v91, v101, v91
	v_add_f16_e64 v59, v165, v59
	v_add_f16_e32 v39, v123, v41
	v_add_f16_e64 v41, v173, v44
	;; [unrolled: 2-line block ×3, first 2 shown]
	v_fma_f16 v60, v82, 0x3b15, -v132
	v_fmac_f16_e32 v72, 0xbbc4, v66
	v_fma_f16 v74, v66, 0x3b15, -v35
	v_add_f16_e32 v75, v36, v38
	v_add_f16_e32 v82, v6, v40
	v_fmamk_f16 v6, v5, 0x3b15, v73
	v_mul_f16_e32 v38, 0xb94e, v63
	v_fmac_f16_e32 v35, 0x3b15, v66
	v_fmac_f16_e32 v127, 0x388b, v81
	v_add_f16_e64 v89, v149, v137
	v_add_f16_e64 v90, v150, v138
	v_add_f16_e32 v92, v102, v92
	v_add_f16_e64 v93, v151, v139
	v_add_f16_e32 v87, v111, v91
	v_add_f16_e32 v61, v117, v61
	;; [unrolled: 1-line block ×3, first 2 shown]
	v_add_f16_e64 v24, v175, v59
	v_add_f16_e32 v36, v72, v39
	v_add_f16_e32 v40, v74, v41
	v_fma_f16 v39, v5, 0x3b15, -v73
	v_add_f16_e32 v6, v6, v43
	v_mul_f16_e32 v41, 0xb94e, v1
	v_fma_f16 v43, v66, 0xb9fd, -v38
	v_add_f16_e32 v35, v35, v44
	v_mul_f16_e32 v44, 0x3a95, v63
	v_mul_f16_e64 v131, 0x3770, v84
	v_add_f16_e64 v94, v152, v140
	v_add_f16_e64 v85, v159, v89
	;; [unrolled: 1-line block ×3, first 2 shown]
	v_add_f16_e32 v88, v112, v92
	v_add_f16_e64 v89, v161, v93
	v_add_f16_e32 v78, v121, v87
	v_add_f16_e32 v46, v127, v61
	v_add_f16_e64 v21, v128, v62
	v_add_f16_e32 v87, v39, v45
	v_fmamk_f16 v39, v5, 0xb9fd, v41
	v_add_f16_e32 v24, v43, v24
	v_fmac_f16_e32 v38, 0xb9fd, v66
	v_fma_f16 v41, v5, 0xb9fd, -v41
	v_fma_f16 v43, v66, 0x388b, -v44
	v_mul_f16_e32 v45, 0x3a95, v1
	v_mul_f16_e32 v84, 0xbb7b, v84
	v_fma_f16 v179, v81, 0x3b15, -v131
	v_add_f16_e64 v90, v162, v94
	v_add_f16_e64 v76, v169, v85
	;; [unrolled: 1-line block ×3, first 2 shown]
	v_add_f16_e32 v79, v122, v88
	v_add_f16_e64 v85, v171, v89
	v_fmac_f16_e64 v131, 0x3b15, v81
	v_add_f16_e32 v34, v39, v34
	v_add_f16_e32 v39, v38, v46
	;; [unrolled: 1-line block ×4, first 2 shown]
	v_mul_f16_e32 v33, 0xbb7b, v63
	v_fmamk_f16 v38, v5, 0x388b, v45
	v_fmac_f16_e32 v44, 0x388b, v66
	v_fma_f16 v41, v5, 0x388b, -v45
	v_mul_f16_e32 v43, 0xbb7b, v1
	v_add_f16_e64 v86, v172, v90
	v_add_f16_e32 v0, v80, v0
	v_add_f16_e32 v20, v20, v23
	v_add_f16_e64 v23, v180, v77
	v_fma_f16 v61, v81, 0xb5ac, -v84
	v_add_f16_e64 v62, v131, v78
	v_add_f16_e32 v60, v60, v79
	v_fmac_f16_e32 v84, 0xb5ac, v81
	v_fma_f16 v45, v66, 0xb5ac, -v33
	v_add_f16_e32 v46, v38, v57
	v_add_f16_e32 v38, v44, v22
	;; [unrolled: 1-line block ×3, first 2 shown]
	v_fmamk_f16 v22, v5, 0xb5ac, v43
	v_fmac_f16_e32 v33, 0xb5ac, v66
	v_fma_f16 v41, v5, 0xb5ac, -v43
	v_mul_f16_e32 v43, 0x3bf1, v63
	v_mul_f16_e32 v1, 0x3bf1, v1
	v_add_f16_e64 v59, v179, v76
	v_add_f16_e32 v61, v61, v85
	v_add_f16_e32 v64, v64, v86
	;; [unrolled: 1-line block ×6, first 2 shown]
	v_fma_f16 v41, v66, 0x2fb7, -v43
	v_fmamk_f16 v44, v5, 0x2fb7, v1
	v_fmac_f16_e32 v43, 0x2fb7, v66
	v_fma_f16 v1, v5, 0x2fb7, -v1
	v_add_f16_e32 v27, v45, v59
	v_add_lshl_u32 v72, v4, v3, 2
	v_pack_b32_f16 v3, v25, v20
	v_pack_b32_f16 v4, v26, v75
	v_add_f16_e32 v5, v41, v61
	v_add_f16_e32 v41, v44, v64
	;; [unrolled: 1-line block ×4, first 2 shown]
	v_pack_b32_f16 v6, v40, v6
	v_pack_b32_f16 v7, v24, v34
	ds_store_2addr_b32 v72, v3, v4 offset1:17
	ds_store_2addr_b32 v72, v6, v7 offset0:34 offset1:51
	v_pack_b32_f16 v3, v21, v46
	v_pack_b32_f16 v4, v27, v22
	;; [unrolled: 1-line block ×4, first 2 shown]
	v_add_nc_u32_e32 v84, 0x680, v49
	v_pack_b32_f16 v1, v23, v33
	v_pack_b32_f16 v6, v38, v83
	v_add_nc_u32_e32 v85, 0xd80, v49
	v_pack_b32_f16 v7, v39, v89
	v_pack_b32_f16 v20, v35, v87
	v_add_nc_u32_e32 v86, 0x1480, v49
	v_pack_b32_f16 v21, v36, v82
	ds_store_2addr_b32 v72, v3, v4 offset0:68 offset1:85
	ds_store_2addr_b32 v72, v5, v0 offset0:102 offset1:119
	;; [unrolled: 1-line block ×4, first 2 shown]
	ds_store_b32 v72, v21 offset:816
	global_wb scope:SCOPE_SE
	s_wait_dscnt 0x0
	s_barrier_signal -1
	s_barrier_wait -1
	global_inv scope:SCOPE_SE
	ds_load_2addr_b32 v[43:44], v49 offset1:221
	ds_load_2addr_b32 v[45:46], v84 offset0:26 offset1:247
	ds_load_2addr_b32 v[40:41], v85 offset0:20 offset1:241
	;; [unrolled: 1-line block ×3, first 2 shown]
	ds_load_b32 v57, v49 offset:7072
                                        ; implicit-def: $vgpr90
                                        ; implicit-def: $vgpr91
	s_and_saveexec_b32 s1, s0
	s_cbranch_execz .LBB0_9
; %bb.8:
	v_add_nc_u32_e32 v0, 0x200, v49
	v_add_nc_u32_e32 v1, 0x900, v49
	ds_load_2addr_b32 v[29:30], v2 offset0:7 offset1:228
	v_add_nc_u32_e32 v2, 0x1000, v49
	ds_load_2addr_b32 v[38:39], v0 offset0:25 offset1:246
	ds_load_2addr_b32 v[35:36], v1 offset0:19 offset1:240
	;; [unrolled: 1-line block ×3, first 2 shown]
	ds_load_b32 v90, v49 offset:7684
	s_wait_dscnt 0x4
	v_lshrrev_b32_e32 v37, 16, v29
	v_lshrrev_b32_e32 v42, 16, v30
	s_wait_dscnt 0x3
	v_lshrrev_b32_e32 v83, 16, v38
	v_lshrrev_b32_e32 v89, 16, v39
	;; [unrolled: 3-line block ×4, first 2 shown]
	s_wait_dscnt 0x0
	v_lshrrev_b32_e32 v91, 16, v90
.LBB0_9:
	s_wait_alu 0xfffe
	s_or_b32 exec_lo, exec_lo, s1
	v_lshlrev_b32_e32 v0, 5, v50
	s_wait_dscnt 0x4
	v_lshrrev_b32_e32 v59, 16, v44
	s_wait_dscnt 0x3
	v_lshrrev_b32_e32 v60, 16, v45
	v_lshrrev_b32_e32 v61, 16, v46
	s_wait_dscnt 0x2
	v_lshrrev_b32_e32 v62, 16, v40
	s_clause 0x1
	global_load_b128 v[20:23], v0, s[2:3] offset:816
	global_load_b128 v[24:27], v0, s[2:3] offset:832
	v_add_co_u32 v0, s1, 0x99, v50
	s_wait_alu 0xf1ff
	v_add_co_ci_u32_e64 v1, null, 0, 0, s1
	v_add_co_u32 v2, s1, 0xffffffbc, v50
	s_wait_alu 0xf1ff
	v_add_co_ci_u32_e64 v3, null, 0, -1, s1
	v_lshrrev_b32_e32 v63, 16, v41
	s_delay_alu instid0(VALU_DEP_3)
	v_cndmask_b32_e64 v0, v2, v0, s0
	s_wait_dscnt 0x1
	v_lshrrev_b32_e32 v64, 16, v33
	v_cndmask_b32_e64 v1, v3, v1, s0
	v_lshrrev_b32_e32 v66, 16, v34
	s_wait_dscnt 0x0
	v_lshrrev_b32_e32 v88, 16, v57
	v_lshrrev_b32_e32 v81, 16, v43
	v_lshlrev_b64_e32 v[0:1], 5, v[0:1]
	s_delay_alu instid0(VALU_DEP_1) | instskip(SKIP_1) | instid1(VALU_DEP_2)
	v_add_co_u32 v4, s1, s2, v0
	s_wait_alu 0xf1ff
	v_add_co_ci_u32_e64 v5, s1, s3, v1, s1
	s_clause 0x1
	global_load_b128 v[0:3], v[4:5], off offset:816
	global_load_b128 v[4:7], v[4:5], off offset:832
	s_wait_loadcnt 0x3
	v_lshrrev_b32_e32 v80, 16, v20
	v_lshrrev_b32_e32 v79, 16, v21
	;; [unrolled: 1-line block ×4, first 2 shown]
	s_wait_loadcnt 0x2
	v_lshrrev_b32_e32 v76, 16, v24
	v_lshrrev_b32_e32 v73, 16, v25
	;; [unrolled: 1-line block ×4, first 2 shown]
	v_mul_f16_e32 v92, v59, v80
	v_mul_f16_e32 v93, v44, v80
	;; [unrolled: 1-line block ×16, first 2 shown]
	v_fma_f16 v44, v44, v20, -v92
	v_fmac_f16_e32 v93, v59, v20
	v_fma_f16 v45, v45, v21, -v94
	v_fmac_f16_e32 v95, v60, v21
	;; [unrolled: 2-line block ×5, first 2 shown]
	v_fma_f16 v33, v33, v25, -v102
	v_fma_f16 v57, v57, v27, -v106
	v_fmac_f16_e32 v107, v88, v27
	v_fma_f16 v34, v34, v26, -v104
	v_fmac_f16_e32 v105, v66, v26
	v_fmac_f16_e32 v103, v64, v25
	v_add_f16_e32 v94, v44, v57
	v_add_f16_e32 v98, v93, v107
	;; [unrolled: 1-line block ×6, first 2 shown]
	v_sub_f16_e32 v44, v44, v57
	v_sub_f16_e32 v92, v93, v107
	;; [unrolled: 1-line block ×7, first 2 shown]
	v_add_f16_e32 v105, v99, v101
	s_wait_loadcnt 0x1
	v_lshrrev_b32_e32 v57, 16, v0
	v_lshrrev_b32_e32 v64, 16, v1
	;; [unrolled: 1-line block ×3, first 2 shown]
	s_wait_loadcnt 0x0
	v_lshrrev_b32_e32 v63, 16, v4
	v_lshrrev_b32_e32 v61, 16, v5
	;; [unrolled: 1-line block ×4, first 2 shown]
	v_sub_f16_e32 v45, v45, v34
	v_add_f16_e32 v103, v40, v41
	v_lshrrev_b32_e32 v60, 16, v2
	v_mul_f16_e32 v106, 0x3924, v44
	v_mul_f16_e32 v107, 0x3924, v92
	v_fmamk_f16 v109, v98, 0x3a21, v81
	v_mul_f16_e32 v110, 0xb924, v95
	v_mul_f16_e32 v111, 0xb924, v97
	v_fmamk_f16 v113, v105, 0x3a21, v81
	v_add_f16_e32 v116, v96, v94
	v_add_f16_e32 v117, v100, v98
	v_mul_f16_e32 v118, 0x3be1, v95
	v_mul_f16_e32 v119, 0x3be1, v97
	;; [unrolled: 1-line block ×7, first 2 shown]
	v_mul_f16_e64 v128, v47, v63
	v_mul_f16_e64 v131, v29, v61
	;; [unrolled: 1-line block ×6, first 2 shown]
	v_add_f16_e32 v114, v95, v44
	v_add_f16_e32 v88, v104, v81
	v_mul_f16_e32 v124, v82, v60
	v_mul_f16_e32 v125, v36, v60
	;; [unrolled: 1-line block ×3, first 2 shown]
	v_mul_f16_e64 v129, v32, v63
	v_mul_f16_e64 v130, v37, v61
	v_fmac_f16_e32 v106, 0x3be1, v45
	v_fmac_f16_e32 v107, 0x3be1, v93
	;; [unrolled: 1-line block ×6, first 2 shown]
	v_add_f16_e64 v136, v103, v116
	v_add_f16_e64 v137, v105, v117
	v_fma_f16 v118, v45, 0xb924, -v118
	v_fma_f16 v119, v93, 0xb924, -v119
	v_add_f16_e32 v116, v102, v116
	v_add_f16_e32 v117, v104, v117
	v_fma_f16 v39, v39, v0, -v120
	v_fmac_f16_e32 v121, v89, v0
	v_fma_f16 v35, v35, v1, -v122
	v_fmac_f16_e32 v123, v87, v1
	v_fma_f16 v31, v31, v3, -v126
	v_fma_f16 v32, v32, v4, -v128
	v_fmac_f16_e64 v131, v37, v5
	v_fma_f16 v30, v30, v6, -v132
	v_fmac_f16_e64 v133, v42, v6
	v_fma_f16 v37, v90, v7, -v134
	v_fmac_f16_e64 v135, v91, v7
	v_sub_f16_e32 v114, v114, v45
	v_fma_f16 v36, v36, v2, -v124
	v_fmac_f16_e32 v125, v82, v2
	v_fmac_f16_e32 v127, v48, v3
	v_fmac_f16_e64 v129, v47, v4
	v_fma_f16 v29, v29, v5, -v130
	v_fmac_f16_e32 v106, 0x3aee, v33
	v_fmac_f16_e32 v107, 0x3aee, v46
	v_fmac_f16_e32 v109, -0.5, v104
	v_fmac_f16_e32 v110, 0xbaee, v33
	v_fmac_f16_e32 v111, 0xbaee, v46
	v_fmac_f16_e32 v113, -0.5, v104
	v_fmac_f16_e64 v88, -0.5, v137
	v_fmac_f16_e32 v118, 0x3aee, v33
	v_fmac_f16_e32 v119, 0x3aee, v46
	v_add_f16_e32 v33, v40, v116
	v_add_f16_e32 v40, v99, v117
	;; [unrolled: 1-line block ×3, first 2 shown]
	v_add_f16_e64 v90, v121, v135
	v_add_f16_e32 v46, v35, v30
	v_add_f16_e64 v82, v123, v133
	v_sub_f16_e32 v99, v39, v37
	v_sub_f16_e64 v120, v121, v135
	v_sub_f16_e64 v121, v123, v133
	v_sub_f16_e32 v123, v31, v32
	v_add_f16_e32 v115, v97, v92
	v_mul_f16_e32 v42, 0x3aee, v114
	v_add_f16_e32 v116, v36, v29
	v_add_f16_e64 v117, v125, v131
	v_sub_f16_e32 v30, v35, v30
	v_add_f16_e64 v126, v127, v129
	v_fmac_f16_e32 v106, 0x3579, v95
	v_fmac_f16_e32 v107, 0x3579, v97
	;; [unrolled: 1-line block ×6, first 2 shown]
	v_add_f16_e32 v40, v101, v40
	v_mul_f16_e32 v114, 0x3924, v99
	v_mul_f16_e64 v128, 0xb924, v123
	v_add_f16_e32 v97, v46, v48
	v_add_f16_e32 v101, v82, v90
	v_mul_f16_e64 v133, 0x3be1, v123
	v_fmamk_f16 v108, v94, 0x3a21, v43
	v_fmamk_f16 v112, v103, 0x3a21, v43
	v_sub_f16_e32 v115, v115, v93
	v_sub_f16_e32 v29, v36, v29
	v_fmac_f16_e32 v111, 0x3579, v93
	v_fmac_f16_e32 v119, 0x3579, v92
	v_sub_f16_e32 v92, v109, v106
	v_sub_f16_e32 v93, v113, v110
	v_add_f16_e32 v87, v40, v81
	v_fmac_f16_e32 v81, 0x3a21, v100
	v_fmac_f16_e32 v114, 0x3be1, v30
	v_fmac_f16_e64 v128, 0x3be1, v99
	v_add_f16_e32 v100, v126, v101
	v_fma_f16 v109, v30, 0xb924, -v133
	v_add_f16_e32 v113, v116, v97
	v_add_f16_e32 v101, v117, v101
	;; [unrolled: 1-line block ×3, first 2 shown]
	v_fmac_f16_e32 v108, 0x318f, v96
	v_fmac_f16_e32 v112, 0x318f, v94
	v_sub_f16_e64 v122, v125, v131
	v_add_f16_e32 v125, v31, v32
	v_add_f16_e32 v35, v41, v33
	;; [unrolled: 1-line block ×4, first 2 shown]
	v_fmac_f16_e32 v114, 0x3aee, v29
	v_fmac_f16_e64 v128, 0xbaee, v29
	v_fmac_f16_e32 v109, 0x3aee, v29
	v_add_f16_e32 v29, v31, v113
	v_add_f16_e32 v31, v127, v101
	v_fmac_f16_e32 v108, -0.5, v102
	v_fmac_f16_e32 v112, -0.5, v102
	v_fmac_f16_e64 v34, -0.5, v136
	v_sub_f16_e64 v124, v127, v129
	v_fma_f16 v91, 2.0, v42, v88
	v_add_f16_e32 v35, v35, v43
	v_fmac_f16_e32 v43, 0x3a21, v96
	v_sub_f16_e32 v42, v41, v30
	v_fmac_f16_e32 v89, -0.5, v100
	v_fmac_f16_e64 v128, 0x3579, v30
	v_add_f16_e32 v29, v32, v29
	v_add_f16_e64 v30, v129, v31
	v_fmamk_f16 v95, v90, 0x3a21, v83
	v_mul_f16_e32 v47, 0x3aee, v115
	v_fmac_f16_e32 v108, 0xbb84, v103
	v_fmac_f16_e32 v112, 0xbb84, v96
	;; [unrolled: 1-line block ×4, first 2 shown]
	v_mul_f16_e32 v115, 0x3924, v120
	v_fmamk_f16 v44, v48, 0x3a21, v38
	v_mul_f16_e64 v130, 0xb924, v124
	v_fma_f16 v131, 0x3a21, v125, v38
	v_fma_f16 v132, 0x3a21, v126, v83
	v_add_f16_e32 v37, v38, v116
	v_mul_f16_e64 v134, 0x3be1, v124
	v_fmac_f16_e32 v43, 0x318f, v103
	v_mul_f16_e32 v103, 0x3aee, v42
	v_fmac_f16_e32 v89, 0xbaee, v42
	v_add_f16_e32 v42, v38, v29
	v_add_f16_e32 v101, v83, v30
	v_fmac_f16_e32 v38, 0x3a21, v46
	v_fmac_f16_e32 v83, 0x3a21, v82
	;; [unrolled: 1-line block ×4, first 2 shown]
	v_add_f16_e32 v33, v111, v112
	v_fmac_f16_e32 v115, 0x3be1, v121
	v_fmac_f16_e32 v44, 0x318f, v46
	v_fmac_f16_e64 v130, 0x3be1, v120
	v_fmac_f16_e64 v131, 0x318f, v48
	;; [unrolled: 1-line block ×3, first 2 shown]
	v_fma_f16 v112, v121, 0xb924, -v134
	v_fmac_f16_e32 v38, 0x318f, v125
	v_fmac_f16_e32 v83, 0x318f, v126
	v_fmac_f16_e32 v95, -0.5, v117
	v_fmac_f16_e32 v43, -0.5, v102
	;; [unrolled: 1-line block ×3, first 2 shown]
	v_add_f16_e32 v45, v124, v120
	v_fma_f16 v39, -2.0, v47, v34
	v_add_f16_e32 v47, v125, v97
	v_fmac_f16_e32 v115, 0x3aee, v122
	v_fmac_f16_e32 v44, -0.5, v116
	v_fmac_f16_e64 v130, 0xbaee, v122
	v_fmac_f16_e64 v131, -0.5, v116
	v_fmac_f16_e64 v132, -0.5, v117
	v_fmac_f16_e32 v112, 0x3aee, v122
	v_fmac_f16_e32 v38, -0.5, v116
	v_fmac_f16_e32 v83, -0.5, v117
	v_fmac_f16_e32 v114, 0x3579, v123
	v_fmac_f16_e32 v95, 0xbb84, v126
	;; [unrolled: 1-line block ×4, first 2 shown]
	v_sub_f16_e32 v45, v45, v121
	v_fmac_f16_e32 v37, -0.5, v47
	v_fmac_f16_e32 v115, 0x3579, v124
	v_fmac_f16_e32 v44, 0xbb84, v125
	v_fmac_f16_e64 v130, 0x3579, v121
	v_fmac_f16_e64 v131, 0xbb84, v46
	;; [unrolled: 1-line block ×3, first 2 shown]
	v_fmac_f16_e32 v109, 0x3579, v99
	v_fmac_f16_e32 v112, 0x3579, v120
	;; [unrolled: 1-line block ×4, first 2 shown]
	v_sub_f16_e32 v100, v95, v114
	v_fma_f16 v95, 2.0, v103, v89
	v_add_f16_e32 v47, v119, v43
	v_sub_f16_e32 v103, v81, v118
	v_add_f16_e32 v36, v107, v108
	v_fma_f16 v40, -2.0, v111, v33
	v_mul_f16_e32 v111, 0x3aee, v45
	v_fmac_f16_e32 v37, 0x3aee, v45
	v_add_f16_e32 v45, v115, v44
	v_add_f16_e64 v46, v130, v131
	v_sub_f16_e64 v99, v132, v128
	v_add_f16_e32 v38, v112, v38
	v_sub_f16_e32 v102, v83, v109
	v_fma_f16 v48, -2.0, v119, v47
	v_fma_f16 v104, 2.0, v118, v103
	v_fma_f16 v97, 2.0, v110, v93
	v_fma_f16 v41, -2.0, v107, v36
	v_fma_f16 v96, 2.0, v106, v92
	v_pack_b32_f16 v105, v35, v87
	v_pack_b32_f16 v106, v36, v92
	v_fma_f16 v44, -2.0, v111, v37
	v_fma_f16 v81, -2.0, v115, v45
	v_fma_f16 v82, 2.0, v114, v100
	v_fma_f16 v94, -2.0, v130, v46
	v_fma_f16 v90, 2.0, v128, v99
	v_fma_f16 v43, -2.0, v112, v38
	v_fma_f16 v98, 2.0, v109, v102
	v_pack_b32_f16 v108, v34, v88
	v_pack_b32_f16 v107, v33, v93
	;; [unrolled: 1-line block ×7, first 2 shown]
	ds_store_2addr_b32 v49, v105, v106 offset1:221
	ds_store_2addr_b32 v84, v107, v108 offset0:26 offset1:247
	ds_store_2addr_b32 v85, v29, v30 offset0:20 offset1:241
	;; [unrolled: 1-line block ×3, first 2 shown]
	ds_store_b32 v49, v122 offset:7072
	s_and_saveexec_b32 s1, s0
	s_cbranch_execz .LBB0_11
; %bb.10:
	v_perm_b32 v29, v101, v42, 0x5040100
	v_perm_b32 v30, v100, v45, 0x5040100
	v_add_nc_u32_e32 v31, 0x200, v49
	v_perm_b32 v32, v99, v46, 0x5040100
	v_perm_b32 v83, v89, v37, 0x5040100
	v_add_nc_u32_e32 v84, 0x900, v49
	;; [unrolled: 3-line block ×4, first 2 shown]
	v_perm_b32 v109, v82, v81, 0x5040100
	ds_store_2addr_b32 v31, v29, v30 offset0:25 offset1:246
	ds_store_2addr_b32 v84, v32, v83 offset0:19 offset1:240
	;; [unrolled: 1-line block ×4, first 2 shown]
	ds_store_b32 v49, v109 offset:7684
.LBB0_11:
	s_wait_alu 0xfffe
	s_or_b32 exec_lo, exec_lo, s1
	global_wb scope:SCOPE_SE
	s_wait_dscnt 0x0
	s_barrier_signal -1
	s_barrier_wait -1
	global_inv scope:SCOPE_SE
	s_and_saveexec_b32 s1, vcc_lo
	s_cbranch_execz .LBB0_13
; %bb.12:
	global_load_b32 v29, v49, s[12:13] offset:7956
	s_add_nc_u64 s[2:3], s[12:13], 0x1f14
	s_clause 0xf
	global_load_b32 v113, v49, s[2:3] offset:468
	global_load_b32 v114, v49, s[2:3] offset:936
	;; [unrolled: 1-line block ×16, first 2 shown]
	ds_load_b32 v30, v49
	v_add_nc_u32_e32 v129, 0x400, v49
	v_add_nc_u32_e32 v130, 0x800, v49
	;; [unrolled: 1-line block ×7, first 2 shown]
	s_wait_dscnt 0x0
	v_lshrrev_b32_e32 v31, 16, v30
	s_wait_loadcnt 0xf
	v_lshrrev_b32_e32 v136, 16, v113
	s_wait_loadcnt 0xe
	;; [unrolled: 2-line block ×12, first 2 shown]
	v_lshrrev_b32_e32 v147, 16, v124
	v_lshrrev_b32_e32 v32, 16, v29
	s_wait_loadcnt 0x3
	v_lshrrev_b32_e32 v148, 16, v125
	s_wait_loadcnt 0x2
	;; [unrolled: 2-line block ×4, first 2 shown]
	v_lshrrev_b32_e32 v151, 16, v128
	v_mul_f16_e32 v83, v31, v32
	v_mul_f16_e32 v32, v30, v32
	s_delay_alu instid0(VALU_DEP_2) | instskip(NEXT) | instid1(VALU_DEP_2)
	v_fma_f16 v30, v30, v29, -v83
	v_fmac_f16_e32 v32, v31, v29
	s_delay_alu instid0(VALU_DEP_1)
	v_pack_b32_f16 v29, v30, v32
	ds_store_b32 v49, v29
	ds_load_2addr_b32 v[29:30], v49 offset0:117 offset1:234
	ds_load_2addr_b32 v[31:32], v129 offset0:95 offset1:212
	;; [unrolled: 1-line block ×8, first 2 shown]
	s_wait_dscnt 0x7
	v_lshrrev_b32_e32 v152, 16, v29
	v_lshrrev_b32_e32 v154, 16, v30
	s_wait_dscnt 0x6
	v_lshrrev_b32_e32 v156, 16, v31
	v_lshrrev_b32_e32 v158, 16, v32
	s_wait_dscnt 0x5
	v_lshrrev_b32_e32 v160, 16, v83
	v_lshrrev_b32_e32 v162, 16, v84
	s_wait_dscnt 0x4
	v_lshrrev_b32_e32 v164, 16, v85
	v_lshrrev_b32_e32 v166, 16, v86
	s_wait_dscnt 0x3
	v_lshrrev_b32_e32 v168, 16, v105
	v_lshrrev_b32_e32 v170, 16, v106
	v_mul_f16_e64 v153, v29, v136
	v_mul_f16_e64 v155, v30, v137
	s_wait_dscnt 0x2
	v_lshrrev_b32_e32 v172, 16, v107
	v_lshrrev_b32_e32 v174, 16, v108
	s_wait_dscnt 0x1
	v_lshrrev_b32_e32 v176, 16, v109
	v_lshrrev_b32_e32 v178, 16, v110
	;; [unrolled: 3-line block ×3, first 2 shown]
	v_mul_f16_e64 v136, v152, v136
	v_mul_f16_e64 v137, v154, v137
	;; [unrolled: 1-line block ×24, first 2 shown]
	v_fmac_f16_e64 v153, v152, v113
	v_fmac_f16_e64 v155, v154, v114
	v_mul_f16_e64 v146, v172, v146
	v_mul_f16_e64 v147, v174, v147
	;; [unrolled: 1-line block ×6, first 2 shown]
	v_fma_f16 v29, v29, v113, -v136
	v_fma_f16 v30, v30, v114, -v137
	v_fmac_f16_e64 v157, v156, v115
	v_fmac_f16_e64 v159, v158, v116
	v_fma_f16 v31, v31, v115, -v138
	v_fma_f16 v32, v32, v116, -v139
	v_fmac_f16_e64 v161, v160, v117
	v_fmac_f16_e64 v163, v162, v118
	v_fma_f16 v83, v83, v117, -v140
	v_fma_f16 v84, v84, v118, -v141
	v_fmac_f16_e64 v165, v164, v119
	v_fmac_f16_e64 v167, v166, v120
	v_fma_f16 v85, v85, v119, -v142
	v_fma_f16 v86, v86, v120, -v143
	v_fmac_f16_e64 v169, v168, v121
	v_fmac_f16_e64 v171, v170, v122
	v_fma_f16 v105, v105, v121, -v144
	v_fma_f16 v106, v106, v122, -v145
	v_fmac_f16_e64 v173, v172, v123
	v_fmac_f16_e64 v175, v174, v124
	v_fmac_f16_e64 v177, v176, v125
	v_fmac_f16_e64 v179, v178, v126
	;; [unrolled: 1-line block ×4, first 2 shown]
	v_fma_f16 v107, v107, v123, -v146
	v_fma_f16 v108, v108, v124, -v147
	;; [unrolled: 1-line block ×6, first 2 shown]
	v_pack_b32_f16 v29, v29, v153
	v_pack_b32_f16 v30, v30, v155
	;; [unrolled: 1-line block ×16, first 2 shown]
	ds_store_2addr_b32 v49, v29, v30 offset0:117 offset1:234
	ds_store_2addr_b32 v129, v31, v32 offset0:95 offset1:212
	;; [unrolled: 1-line block ×8, first 2 shown]
.LBB0_13:
	s_wait_alu 0xfffe
	s_or_b32 exec_lo, exec_lo, s1
	global_wb scope:SCOPE_SE
	s_wait_dscnt 0x0
	s_barrier_signal -1
	s_barrier_wait -1
	global_inv scope:SCOPE_SE
	s_and_saveexec_b32 s1, vcc_lo
	s_cbranch_execz .LBB0_15
; %bb.14:
	v_add_nc_u32_e32 v29, 0x200, v49
	v_add_nc_u32_e32 v30, 0x600, v49
	;; [unrolled: 1-line block ×3, first 2 shown]
	ds_load_2addr_b32 v[35:36], v49 offset1:117
	ds_load_2addr_b32 v[33:34], v29 offset0:106 offset1:223
	v_add_nc_u32_e32 v29, 0xe00, v49
	ds_load_2addr_b32 v[47:48], v30 offset0:84 offset1:201
	v_add_nc_u32_e32 v30, 0x1200, v49
	ds_load_2addr_b32 v[39:40], v31 offset0:62 offset1:179
	v_add_nc_u32_e32 v31, 0x1400, v49
	ds_load_2addr_b32 v[41:42], v29 offset0:40 offset1:157
	v_add_nc_u32_e32 v29, 0x1800, v49
	ds_load_2addr_b32 v[45:46], v30 offset0:18 offset1:135
	ds_load_2addr_b32 v[37:38], v31 offset0:124 offset1:241
	;; [unrolled: 1-line block ×3, first 2 shown]
	ds_load_b32 v94, v49 offset:7488
	s_wait_dscnt 0x8
	v_lshrrev_b32_e32 v87, 16, v35
	v_lshrrev_b32_e32 v92, 16, v36
	s_wait_dscnt 0x7
	v_lshrrev_b32_e32 v93, 16, v33
	v_lshrrev_b32_e32 v88, 16, v34
	;; [unrolled: 3-line block ×8, first 2 shown]
	s_wait_dscnt 0x0
	v_lshrrev_b32_e32 v90, 16, v94
.LBB0_15:
	s_wait_alu 0xfffe
	s_or_b32 exec_lo, exec_lo, s1
	s_delay_alu instid0(VALU_DEP_1)
	v_sub_f16_e64 v163, v92, v90
	v_add_f16_e32 v105, v90, v92
	v_add_f16_e64 v158, v94, v36
	v_sub_f16_e32 v109, v36, v94
	v_sub_f16_e32 v111, v93, v95
	v_mul_f16_e64 v159, 0xb5c8, v163
	v_mul_f16_e64 v154, 0x3b76, v105
	;; [unrolled: 1-line block ×3, first 2 shown]
	v_add_f16_e32 v106, v95, v93
	v_mul_f16_e64 v139, 0x39e9, v105
	v_mul_f16_e64 v169, 0xbb29, v163
	;; [unrolled: 1-line block ×3, first 2 shown]
	v_fma_f16 v29, v158, 0x3b76, -v159
	v_fma_f16 v30, 0xb5c8, v109, v154
	v_fma_f16 v31, v158, 0x39e9, -v167
	v_add_f16_e32 v108, v44, v33
	v_mul_f16_e64 v165, 0xb964, v111
	v_sub_f16_e32 v113, v33, v44
	v_mul_f16_e64 v166, 0x39e9, v106
	v_mul_f16_e64 v142, 0xbbf7, v111
	v_fma_f16 v32, 0xb964, v109, v139
	v_fma_f16 v83, v158, 0x3722, -v169
	v_add_f16_e32 v29, v35, v29
	v_add_f16_e32 v30, v87, v30
	v_fma_f16 v84, 0xbb29, v109, v143
	v_add_f16_e32 v31, v35, v31
	v_mul_f16_e64 v173, 0xbbf7, v163
	v_mul_f16_e64 v131, 0x2de8, v105
	v_fma_f16 v107, v108, 0x39e9, -v165
	v_fma_f16 v110, 0xb964, v113, v166
	v_fma_f16 v112, v108, 0x2de8, -v142
	v_mul_f16_e64 v144, 0x2de8, v106
	v_mul_f16_e64 v147, 0xba62, v111
	;; [unrolled: 1-line block ×3, first 2 shown]
	v_add_f16_e32 v32, v87, v32
	v_add_f16_e32 v83, v35, v83
	;; [unrolled: 1-line block ×3, first 2 shown]
	v_fma_f16 v85, v158, 0x2de8, -v173
	v_fma_f16 v86, 0xbbf7, v109, v131
	v_add_f16_e32 v29, v107, v29
	v_add_f16_e32 v30, v110, v30
	;; [unrolled: 1-line block ×3, first 2 shown]
	v_fma_f16 v107, 0xbbf7, v113, v144
	v_mul_f16_e64 v132, 0xb1e1, v111
	v_fma_f16 v110, v108, 0xb8d2, -v147
	v_mul_f16_e64 v134, 0xbbdd, v106
	v_fma_f16 v112, 0xba62, v113, v151
	v_sub_f16_e32 v115, v88, v98
	v_add_f16_e32 v85, v35, v85
	v_add_f16_e32 v86, v87, v86
	;; [unrolled: 1-line block ×3, first 2 shown]
	v_fma_f16 v107, v108, 0xbbdd, -v132
	v_add_f16_e32 v83, v110, v83
	v_fma_f16 v110, 0xb1e1, v113, v134
	v_add_f16_e32 v84, v112, v84
	v_add_f16_e32 v112, v43, v34
	v_mul_f16_e64 v177, 0xbb29, v115
	v_add_f16_e32 v85, v107, v85
	v_add_f16_e32 v107, v98, v88
	;; [unrolled: 1-line block ×3, first 2 shown]
	v_mul_f16_e64 v152, 0x31e1, v115
	v_fma_f16 v110, v112, 0x3722, -v177
	v_sub_f16_e32 v117, v34, v43
	v_mul_f16_e64 v160, 0xbbdd, v107
	v_mul_f16_e64 v179, 0x3722, v107
	v_mul_f16_e64 v138, 0x3bb2, v115
	v_add_f16_e32 v29, v110, v29
	v_fma_f16 v110, v112, 0xbbdd, -v152
	v_mul_f16_e64 v148, 0xba62, v115
	v_fma_f16 v114, 0xbb29, v117, v179
	v_mul_f16_e64 v149, 0xb8d2, v107
	v_sub_f16_e32 v121, v47, v38
	v_add_f16_e32 v83, v110, v83
	v_fma_f16 v110, 0x31e1, v117, v160
	v_add_f16_e32 v30, v114, v30
	v_fma_f16 v114, v112, 0xb461, -v138
	v_fma_f16 v116, v112, 0xb8d2, -v148
	v_fma_f16 v118, 0xba62, v117, v149
	v_add_f16_e32 v84, v110, v84
	v_add_f16_e32 v110, v102, v103
	v_sub_f16_e32 v119, v103, v102
	v_mul_f16_e64 v140, 0xb461, v107
	v_add_f16_e32 v85, v114, v85
	v_add_f16_e32 v31, v116, v31
	v_mul_f16_e64 v184, 0x2de8, v110
	v_mul_f16_e64 v171, 0xb461, v110
	v_add_f16_e32 v32, v118, v32
	v_add_f16_e32 v116, v38, v47
	v_mul_f16_e64 v182, 0xbbf7, v119
	v_fma_f16 v114, 0xbbf7, v121, v184
	v_fma_f16 v118, 0x3bb2, v117, v140
	v_mul_f16_e64 v153, 0xb1e1, v119
	v_mul_f16_e64 v156, 0xbbdd, v110
	v_fma_f16 v120, v116, 0x2de8, -v182
	v_add_f16_e32 v30, v114, v30
	v_fma_f16 v114, 0x3bb2, v121, v171
	v_add_f16_e32 v86, v118, v86
	v_mul_f16_e64 v161, 0x3bb2, v119
	v_fma_f16 v118, v116, 0xbbdd, -v153
	v_mul_f16_e64 v141, 0x35c8, v119
	v_add_f16_e32 v84, v114, v84
	v_add_f16_e32 v114, v89, v104
	;; [unrolled: 1-line block ×3, first 2 shown]
	v_fma_f16 v120, 0xb1e1, v121, v156
	v_fma_f16 v122, v116, 0xb461, -v161
	v_add_f16_e32 v31, v118, v31
	v_sub_f16_e32 v123, v104, v89
	v_mul_f16_e64 v145, 0x3b76, v110
	v_fma_f16 v118, v116, 0x3b76, -v141
	v_sub_f16_e32 v126, v48, v37
	v_mul_f16_e64 v190, 0xb461, v114
	v_add_f16_e32 v32, v120, v32
	v_add_f16_e32 v83, v122, v83
	;; [unrolled: 1-line block ×3, first 2 shown]
	v_mul_f16_e64 v188, 0xbbb2, v123
	v_fma_f16 v122, 0x35c8, v121, v145
	v_mul_f16_e64 v162, 0x3836, v123
	v_add_f16_e32 v85, v118, v85
	v_fma_f16 v118, 0xbbb2, v126, v190
	v_mul_f16_e64 v168, 0xbacd, v114
	v_fma_f16 v124, v120, 0xb461, -v188
	v_add_f16_e32 v86, v122, v86
	v_fma_f16 v122, v120, 0xbacd, -v162
	v_add_f16_e32 v30, v118, v30
	v_mul_f16_e64 v176, 0x3964, v123
	v_mul_f16_e64 v180, 0x39e9, v114
	v_fma_f16 v118, 0x3836, v126, v168
	v_mul_f16_e64 v146, 0xbb29, v123
	v_add_f16_e32 v29, v124, v29
	v_add_f16_e32 v31, v122, v31
	v_fma_f16 v122, v120, 0x39e9, -v176
	v_mul_f16_e64 v150, 0x3722, v114
	v_fma_f16 v124, 0x3964, v126, v180
	v_add_f16_e32 v32, v118, v32
	v_fma_f16 v118, v120, 0x3722, -v146
	v_sub_f16_e32 v127, v91, v99
	v_add_f16_e32 v83, v122, v83
	v_fma_f16 v122, 0xbb29, v126, v150
	v_add_f16_e32 v84, v124, v84
	v_add_f16_e32 v85, v118, v85
	;; [unrolled: 1-line block ×4, first 2 shown]
	v_mul_f16_e64 v194, 0xba62, v127
	v_add_f16_e32 v86, v122, v86
	v_sub_f16_e64 v129, v39, v46
	v_mul_f16_e64 v178, 0xb461, v118
	v_mul_f16_e64 v181, 0xb5c8, v127
	v_fma_f16 v122, v124, 0xb8d2, -v194
	v_mul_f16_e64 v174, 0x3bb2, v127
	v_mul_f16_e64 v187, 0x3b76, v118
	v_fma_f16 v130, 0x3bb2, v129, v178
	v_mul_f16_e64 v195, 0xb8d2, v118
	v_add_f16_e32 v29, v122, v29
	v_fma_f16 v122, v124, 0x3b76, -v181
	v_fma_f16 v128, v124, 0xb461, -v174
	v_add_f16_e64 v32, v130, v32
	v_sub_f16_e64 v130, v97, v100
	v_fma_f16 v125, 0xba62, v129, v195
	v_add_f16_e32 v83, v122, v83
	v_fma_f16 v122, 0xb5c8, v129, v187
	v_add_f16_e64 v31, v128, v31
	v_mul_f16_e64 v155, 0xb836, v127
	v_add_f16_e64 v128, v45, v40
	v_mul_f16_e64 v198, 0xb836, v130
	v_add_f16_e32 v84, v122, v84
	v_add_f16_e32 v122, v100, v97
	;; [unrolled: 1-line block ×3, first 2 shown]
	v_mul_f16_e64 v157, 0xbacd, v118
	v_fma_f16 v125, v124, 0xbacd, -v155
	v_fma_f16 v135, v128, 0xbacd, -v198
	v_sub_f16_e64 v136, v40, v45
	v_mul_f16_e64 v200, 0xbacd, v122
	v_mul_f16_e64 v185, 0x3722, v122
	v_fma_f16 v133, 0xb836, v129, v157
	v_add_f16_e32 v85, v125, v85
	v_add_f16_e64 v29, v135, v29
	v_mul_f16_e64 v183, 0x3b29, v130
	v_mul_f16_e64 v186, 0xbbf7, v130
	;; [unrolled: 1-line block ×3, first 2 shown]
	v_fma_f16 v125, 0xb836, v136, v200
	v_fma_f16 v135, 0x3b29, v136, v185
	v_add_f16_e64 v86, v133, v86
	v_fma_f16 v133, v128, 0x3722, -v183
	v_fma_f16 v137, v128, 0x2de8, -v186
	v_fma_f16 v164, 0xbbf7, v136, v193
	v_add_f16_e64 v172, v125, v30
	v_add_f16_e64 v32, v135, v32
	v_sub_f16_e64 v135, v96, v101
	v_add_f16_e32 v125, v101, v96
	v_add_f16_e64 v31, v133, v31
	v_add_f16_e64 v201, v137, v83
	;; [unrolled: 1-line block ×3, first 2 shown]
	v_mul_f16_e64 v164, 0x3a62, v130
	v_add_f16_e64 v133, v42, v41
	v_sub_f16_e64 v137, v41, v42
	v_mul_f16_e64 v197, 0xb1e1, v135
	v_mul_f16_e64 v199, 0xbbdd, v125
	;; [unrolled: 1-line block ×4, first 2 shown]
	v_fma_f16 v30, v128, 0xb8d2, -v164
	v_fma_f16 v84, v133, 0xbbdd, -v197
	v_fma_f16 v175, 0xb1e1, v137, v199
	v_fma_f16 v192, v133, 0x3b76, -v189
	v_fma_f16 v83, 0x3a62, v136, v170
	v_add_f16_e32 v85, v30, v85
	v_add_f16_e32 v30, v84, v29
	v_add_f16_e64 v84, v175, v172
	v_mul_f16_e64 v191, 0x3b76, v125
	v_add_f16_e64 v29, v192, v31
	v_mul_f16_e64 v192, 0xb836, v135
	v_mul_f16_e64 v196, 0xbacd, v125
	;; [unrolled: 1-line block ×4, first 2 shown]
	v_add_f16_e64 v203, v83, v86
	v_fma_f16 v31, 0x35c8, v137, v191
	v_fma_f16 v86, v133, 0xbacd, -v192
	v_fma_f16 v204, 0xb836, v137, v196
	v_fma_f16 v205, v133, 0x39e9, -v172
	v_fma_f16 v206, 0x3964, v137, v175
	v_add_f16_e32 v83, v31, v32
	v_add_f16_e64 v32, v86, v201
	v_add_f16_e64 v86, v204, v202
	;; [unrolled: 1-line block ×4, first 2 shown]
	global_wb scope:SCOPE_SE
	s_barrier_signal -1
	s_barrier_wait -1
	global_inv scope:SCOPE_SE
	s_and_saveexec_b32 s1, vcc_lo
	s_cbranch_execz .LBB0_17
; %bb.16:
	v_add_f16_e32 v36, v36, v35
	s_delay_alu instid0(VALU_DEP_1) | instskip(NEXT) | instid1(VALU_DEP_1)
	v_add_f16_e32 v33, v33, v36
	v_add_f16_e32 v33, v34, v33
	s_delay_alu instid0(VALU_DEP_1) | instskip(NEXT) | instid1(VALU_DEP_1)
	v_add_f16_e32 v33, v47, v33
	v_add_f16_e32 v33, v48, v33
	v_mul_f16_e64 v48, 0x3b76, v158
	s_delay_alu instid0(VALU_DEP_2) | instskip(NEXT) | instid1(VALU_DEP_2)
	v_add_f16_e32 v33, v39, v33
	v_add_f16_e64 v48, v48, v159
	s_delay_alu instid0(VALU_DEP_2) | instskip(NEXT) | instid1(VALU_DEP_1)
	v_add_f16_e32 v33, v40, v33
	v_add_f16_e32 v33, v41, v33
	v_mul_f16_e64 v41, 0xb1e1, v163
	s_delay_alu instid0(VALU_DEP_2) | instskip(SKIP_1) | instid1(VALU_DEP_3)
	v_add_f16_e32 v33, v42, v33
	v_mul_f16_e64 v42, 0xb836, v163
	v_fma_f16 v47, v158, 0xbbdd, -v41
	v_fmac_f16_e64 v41, 0xbbdd, v158
	s_delay_alu instid0(VALU_DEP_4) | instskip(SKIP_1) | instid1(VALU_DEP_4)
	v_add_f16_e32 v33, v45, v33
	v_mul_f16_e64 v45, 0xbbb2, v163
	v_add_f16_e32 v47, v35, v47
	s_delay_alu instid0(VALU_DEP_4) | instskip(NEXT) | instid1(VALU_DEP_4)
	v_add_f16_e32 v41, v35, v41
	v_add_f16_e32 v33, v46, v33
	v_mul_f16_e64 v46, 0xba62, v163
	v_fma_f16 v36, v158, 0xb461, -v45
	v_fmac_f16_e64 v45, 0xb461, v158
	s_delay_alu instid0(VALU_DEP_4) | instskip(NEXT) | instid1(VALU_DEP_4)
	v_add_f16_e32 v33, v37, v33
	v_fma_f16 v34, v158, 0xb8d2, -v46
	v_fmac_f16_e64 v46, 0xb8d2, v158
	v_add_f16_e32 v36, v35, v36
	v_add_f16_e32 v45, v35, v45
	v_add_f16_e32 v37, v38, v33
	v_mul_f16_e64 v33, 0x2de8, v158
	v_add_f16_e32 v34, v35, v34
	v_add_f16_e32 v46, v35, v46
	s_delay_alu instid0(VALU_DEP_4) | instskip(NEXT) | instid1(VALU_DEP_4)
	v_add_f16_e32 v37, v43, v37
	v_add_f16_e64 v38, v33, v173
	v_mul_f16_e64 v33, 0x3722, v158
	v_add_f16_e32 v43, v92, v87
	v_mul_f16_e32 v92, 0xbb29, v117
	v_add_f16_e32 v37, v44, v37
	v_mul_f16_e32 v44, 0xb5c8, v109
	v_add_f16_e64 v39, v33, v169
	v_mul_f16_e64 v33, 0x39e9, v158
	v_add_f16_e32 v38, v35, v38
	v_add_f16_e32 v43, v93, v43
	v_sub_f16_e64 v44, v154, v44
	v_add_f16_e32 v39, v35, v39
	v_add_f16_e64 v40, v33, v167
	v_fma_f16 v33, v158, 0xbacd, -v42
	v_fmac_f16_e64 v42, 0xbacd, v158
	v_add_f16_e32 v44, v87, v44
	v_add_f16_e32 v43, v88, v43
	;; [unrolled: 1-line block ×6, first 2 shown]
	v_mul_f16_e32 v48, 0xb964, v113
	v_sub_f16_e64 v92, v179, v92
	v_add_f16_e32 v43, v103, v43
	v_mul_f16_e32 v88, 0x39e9, v108
	v_mul_f16_e32 v93, 0x2de8, v108
	v_sub_f16_e64 v48, v166, v48
	v_add_f16_e32 v37, v94, v37
	v_add_f16_e32 v43, v104, v43
	v_add_f16_e64 v88, v88, v165
	v_add_f16_e64 v93, v93, v142
	v_add_f16_e32 v44, v48, v44
	v_mul_f16_e32 v48, 0xbbf7, v121
	v_add_f16_e32 v43, v91, v43
	v_mul_f16_e32 v91, 0x3722, v112
	v_add_f16_e32 v35, v88, v35
	v_add_f16_e32 v44, v92, v44
	v_sub_f16_e64 v48, v184, v48
	v_add_f16_e32 v43, v97, v43
	v_add_f16_e64 v91, v91, v177
	v_mul_f16_e32 v88, 0x2de8, v116
	v_mul_f16_e32 v92, 0xbbf7, v113
	v_add_f16_e32 v44, v48, v44
	v_mul_f16_e32 v48, 0xbbb2, v126
	v_add_f16_e32 v43, v96, v43
	v_add_f16_e32 v35, v91, v35
	v_add_f16_e64 v88, v88, v182
	v_mul_f16_e64 v91, 0xb1e1, v137
	v_sub_f16_e64 v48, v190, v48
	v_add_f16_e32 v43, v101, v43
	v_sub_f16_e64 v92, v144, v92
	v_add_f16_e32 v35, v88, v35
	v_mul_f16_e32 v88, 0xb461, v120
	v_add_f16_e32 v44, v48, v44
	v_mul_f16_e64 v48, 0xba62, v129
	v_add_f16_e32 v43, v100, v43
	v_sub_f16_e64 v91, v199, v91
	v_add_f16_e64 v88, v88, v188
	v_add_f16_e32 v40, v93, v40
	v_sub_f16_e64 v48, v195, v48
	v_add_f16_e32 v43, v99, v43
	v_mul_f16_e32 v93, 0xb8d2, v112
	v_add_f16_e32 v35, v88, v35
	v_mul_f16_e32 v88, 0xb8d2, v124
	v_add_f16_e32 v44, v48, v44
	v_mul_f16_e64 v48, 0xb836, v136
	v_add_f16_e32 v43, v89, v43
	v_mul_f16_e32 v89, 0xba62, v113
	v_add_f16_e64 v88, v88, v194
	v_add_f16_e64 v93, v93, v148
	v_sub_f16_e64 v48, v200, v48
	v_add_f16_e32 v43, v102, v43
	v_sub_f16_e64 v89, v151, v89
	v_add_f16_e32 v35, v88, v35
	v_mul_f16_e64 v88, 0xbacd, v128
	v_add_f16_e32 v44, v48, v44
	v_mul_f16_e32 v48, 0xbb29, v109
	v_add_f16_e32 v40, v93, v40
	v_mul_f16_e32 v93, 0xbbdd, v116
	v_add_f16_e64 v88, v88, v198
	v_add_f16_e32 v44, v91, v44
	v_sub_f16_e64 v48, v143, v48
	v_mul_f16_e32 v91, 0xb964, v109
	v_add_f16_e64 v93, v93, v153
	v_add_f16_e32 v35, v88, v35
	v_mul_f16_e32 v88, 0x3bb2, v121
	v_add_f16_e32 v48, v87, v48
	v_sub_f16_e64 v91, v139, v91
	v_add_f16_e32 v40, v93, v40
	v_add_f16_e32 v43, v98, v43
	v_sub_f16_e64 v88, v171, v88
	v_add_f16_e32 v48, v89, v48
	v_mul_f16_e32 v89, 0x31e1, v117
	v_add_f16_e32 v91, v87, v91
	v_add_f16_e32 v43, v95, v43
	v_mul_f16_e64 v93, 0xbacd, v133
	v_mul_f16_e64 v96, 0xb5c8, v136
	v_sub_f16_e64 v89, v160, v89
	v_add_f16_e32 v91, v92, v91
	v_mul_f16_e32 v92, 0xba62, v117
	v_add_f16_e32 v43, v90, v43
	v_add_f16_e64 v93, v93, v192
	v_add_f16_e32 v48, v89, v48
	v_mul_f16_e64 v89, 0xbbdd, v133
	v_sub_f16_e64 v92, v149, v92
	v_pack_b32_f16 v37, v37, v43
	v_and_b32_e32 v43, 0xffff, v51
	v_add_f16_e32 v48, v88, v48
	v_add_f16_e64 v89, v89, v197
	v_add_f16_e32 v91, v92, v91
	v_mul_f16_e32 v92, 0xb1e1, v121
	v_mul_f16_e32 v88, 0x3964, v126
	v_lshlrev_b32_e32 v43, 2, v43
	v_add_f16_e32 v35, v89, v35
	v_mul_f16_e32 v89, 0xb8d2, v108
	v_sub_f16_e64 v92, v156, v92
	v_sub_f16_e64 v88, v180, v88
	v_fma_f16 v97, v122, 0x3b76, -v96
	v_pack_b32_f16 v35, v35, v44
	v_add_f16_e64 v89, v89, v147
	v_add_f16_e32 v91, v92, v91
	v_mul_f16_e32 v92, 0x3836, v126
	v_add_f16_e32 v48, v88, v48
	v_mul_f16_e64 v88, 0xb5c8, v129
	v_add_f16_e32 v39, v89, v39
	v_mul_f16_e32 v89, 0xbbdd, v112
	v_sub_f16_e64 v92, v168, v92
	v_mul_f16_e32 v44, 0x3836, v113
	v_sub_f16_e64 v88, v187, v88
	v_mul_f16_e32 v98, 0x3bf7, v127
	v_add_f16_e64 v89, v89, v152
	s_delay_alu instid0(VALU_DEP_3) | instskip(SKIP_1) | instid1(VALU_DEP_3)
	v_add_f16_e32 v48, v88, v48
	v_mul_f16_e64 v88, 0xbbf7, v136
	v_add_f16_e32 v39, v89, v39
	v_mul_f16_e32 v89, 0xb461, v116
	v_fma_f16 v99, v124, 0x2de8, -v98
	v_fmac_f16_e32 v98, 0x2de8, v124
	v_sub_f16_e64 v88, v193, v88
	s_delay_alu instid0(VALU_DEP_4) | instskip(NEXT) | instid1(VALU_DEP_2)
	v_add_f16_e64 v89, v89, v161
	v_add_f16_e32 v48, v88, v48
	v_mul_f16_e64 v88, 0xb836, v137
	s_delay_alu instid0(VALU_DEP_3) | instskip(SKIP_1) | instid1(VALU_DEP_3)
	v_add_f16_e32 v39, v89, v39
	v_mul_f16_e32 v89, 0x39e9, v120
	v_sub_f16_e64 v88, v196, v88
	s_delay_alu instid0(VALU_DEP_2) | instskip(NEXT) | instid1(VALU_DEP_2)
	v_add_f16_e64 v89, v89, v176
	v_add_f16_e32 v48, v88, v48
	s_delay_alu instid0(VALU_DEP_2) | instskip(SKIP_1) | instid1(VALU_DEP_1)
	v_add_f16_e32 v39, v89, v39
	v_mul_f16_e32 v89, 0x3b76, v124
	v_add_f16_e64 v89, v89, v181
	s_delay_alu instid0(VALU_DEP_1) | instskip(SKIP_1) | instid1(VALU_DEP_1)
	v_add_f16_e32 v39, v89, v39
	v_mul_f16_e64 v89, 0x2de8, v128
	v_add_f16_e64 v89, v89, v186
	s_delay_alu instid0(VALU_DEP_1) | instskip(SKIP_3) | instid1(VALU_DEP_4)
	v_add_f16_e32 v39, v89, v39
	v_add_f16_e32 v89, v92, v91
	v_mul_f16_e64 v91, 0x3bb2, v129
	v_mul_f16_e32 v92, 0xbacd, v120
	v_add_f16_e32 v39, v93, v39
	v_mul_f16_e64 v93, 0x3bf7, v129
	s_delay_alu instid0(VALU_DEP_4) | instskip(NEXT) | instid1(VALU_DEP_4)
	v_sub_f16_e64 v91, v178, v91
	v_add_f16_e64 v92, v92, v162
	s_delay_alu instid0(VALU_DEP_4) | instskip(SKIP_1) | instid1(VALU_DEP_4)
	v_pack_b32_f16 v39, v39, v48
	v_fma_f16 v48, v106, 0xbacd, -v44
	v_add_f16_e32 v89, v91, v89
	v_mul_f16_e64 v91, 0x3b29, v136
	v_add_f16_e32 v40, v92, v40
	v_mul_f16_e32 v92, 0xb461, v124
	v_fma_f16 v94, v118, 0x2de8, -v93
	s_delay_alu instid0(VALU_DEP_4) | instskip(NEXT) | instid1(VALU_DEP_3)
	v_sub_f16_e64 v91, v185, v91
	v_add_f16_e64 v92, v92, v174
	s_delay_alu instid0(VALU_DEP_2) | instskip(SKIP_1) | instid1(VALU_DEP_3)
	v_add_f16_e32 v89, v91, v89
	v_mul_f16_e64 v91, 0x3722, v128
	v_add_f16_e32 v40, v92, v40
	v_mul_f16_e64 v92, 0x35c8, v137
	s_delay_alu instid0(VALU_DEP_3) | instskip(NEXT) | instid1(VALU_DEP_2)
	v_add_f16_e64 v91, v91, v183
	v_sub_f16_e64 v92, v191, v92
	s_delay_alu instid0(VALU_DEP_2) | instskip(SKIP_1) | instid1(VALU_DEP_3)
	v_add_f16_e32 v40, v91, v40
	v_mul_f16_e64 v91, 0x3b76, v133
	v_add_f16_e32 v88, v92, v89
	s_delay_alu instid0(VALU_DEP_2) | instskip(NEXT) | instid1(VALU_DEP_1)
	v_add_f16_e64 v91, v91, v189
	v_add_f16_e32 v40, v91, v40
	s_delay_alu instid0(VALU_DEP_1)
	v_pack_b32_f16 v40, v40, v88
	ds_store_2addr_b32 v43, v37, v35 offset1:1
	v_mul_f16_e32 v35, 0xbbb2, v109
	ds_store_2addr_b32 v43, v40, v39 offset0:2 offset1:3
	v_mul_f16_e32 v39, 0xb836, v109
	v_fma_f16 v37, v105, 0xb461, -v35
	v_fmamk_f16 v35, v105, 0xb461, v35
	s_delay_alu instid0(VALU_DEP_3) | instskip(NEXT) | instid1(VALU_DEP_3)
	v_fma_f16 v40, v105, 0xbacd, -v39
	v_add_f16_e32 v37, v87, v37
	s_delay_alu instid0(VALU_DEP_3) | instskip(SKIP_1) | instid1(VALU_DEP_4)
	v_add_f16_e32 v35, v87, v35
	v_fmamk_f16 v39, v105, 0xbacd, v39
	v_add_f16_e32 v40, v87, v40
	s_delay_alu instid0(VALU_DEP_4) | instskip(SKIP_1) | instid1(VALU_DEP_4)
	v_add_f16_e32 v37, v48, v37
	v_mul_f16_e32 v48, 0x3964, v117
	v_add_f16_e32 v39, v87, v39
	s_delay_alu instid0(VALU_DEP_2) | instskip(NEXT) | instid1(VALU_DEP_1)
	v_fma_f16 v51, v107, 0x39e9, -v48
	v_add_f16_e32 v37, v51, v37
	v_mul_f16_e32 v51, 0x3836, v111
	s_delay_alu instid0(VALU_DEP_1) | instskip(SKIP_1) | instid1(VALU_DEP_2)
	v_fma_f16 v88, v108, 0xbacd, -v51
	v_fmac_f16_e32 v51, 0xbacd, v108
	v_add_f16_e32 v36, v88, v36
	s_delay_alu instid0(VALU_DEP_2) | instskip(SKIP_1) | instid1(VALU_DEP_1)
	v_add_f16_e32 v45, v51, v45
	v_mul_f16_e32 v51, 0xbb29, v121
	v_fma_f16 v89, v110, 0x3722, -v51
	s_delay_alu instid0(VALU_DEP_1) | instskip(SKIP_1) | instid1(VALU_DEP_1)
	v_add_f16_e32 v37, v89, v37
	v_mul_f16_e32 v89, 0x3964, v115
	v_fma_f16 v90, v112, 0x39e9, -v89
	v_fmac_f16_e32 v89, 0x39e9, v112
	s_delay_alu instid0(VALU_DEP_2) | instskip(NEXT) | instid1(VALU_DEP_2)
	v_add_f16_e32 v36, v90, v36
	v_add_f16_e32 v45, v89, v45
	v_mul_f16_e32 v89, 0xb1e1, v126
	s_delay_alu instid0(VALU_DEP_1) | instskip(NEXT) | instid1(VALU_DEP_1)
	v_fma_f16 v91, v114, 0xbbdd, -v89
	v_add_f16_e32 v37, v91, v37
	v_mul_f16_e32 v91, 0xbb29, v119
	s_delay_alu instid0(VALU_DEP_2) | instskip(NEXT) | instid1(VALU_DEP_2)
	v_add_f16_e32 v37, v94, v37
	v_fma_f16 v92, v116, 0x3722, -v91
	v_fmac_f16_e32 v91, 0x3722, v116
	v_mul_f16_e32 v94, 0xb1e1, v123
	s_delay_alu instid0(VALU_DEP_4) | instskip(SKIP_1) | instid1(VALU_DEP_4)
	v_add_f16_e32 v37, v97, v37
	v_mul_f16_e32 v97, 0xbbdd, v108
	v_add_f16_e32 v45, v91, v45
	v_mul_f16_e32 v91, 0xbbf7, v109
	v_fma_f16 v95, v120, 0xbbdd, -v94
	v_fmac_f16_e32 v94, 0xbbdd, v120
	v_add_f16_e64 v97, v97, v132
	v_add_f16_e32 v36, v92, v36
	v_sub_f16_e64 v91, v131, v91
	s_delay_alu instid0(VALU_DEP_4) | instskip(SKIP_2) | instid1(VALU_DEP_4)
	v_add_f16_e32 v45, v94, v45
	v_mul_f16_e32 v94, 0xb1e1, v113
	v_add_f16_e32 v38, v97, v38
	v_add_f16_e32 v91, v87, v91
	v_mul_f16_e32 v97, 0xb461, v112
	v_add_f16_e32 v45, v98, v45
	v_sub_f16_e64 v94, v134, v94
	v_mul_f16_e64 v98, 0xba62, v137
	v_add_f16_e32 v36, v95, v36
	v_add_f16_e64 v97, v97, v138
	s_delay_alu instid0(VALU_DEP_4) | instskip(SKIP_2) | instid1(VALU_DEP_4)
	v_add_f16_e32 v91, v94, v91
	v_mul_f16_e32 v94, 0x3bb2, v117
	v_fma_f16 v100, v125, 0xb8d2, -v98
	v_add_f16_e32 v38, v97, v38
	v_mul_f16_e32 v97, 0x3b76, v116
	v_add_f16_e32 v36, v99, v36
	v_sub_f16_e64 v94, v140, v94
	v_add_f16_e32 v37, v100, v37
	v_mul_f16_e64 v100, 0xb5c8, v130
	v_add_f16_e64 v97, v97, v141
	v_mul_f16_e64 v140, 0x3bb2, v113
	v_add_f16_e32 v91, v94, v91
	v_mul_f16_e32 v94, 0x35c8, v121
	v_fma_f16 v101, v128, 0x3b76, -v100
	v_add_f16_e32 v38, v97, v38
	v_mul_f16_e64 v97, 0x3a62, v136
	v_fmac_f16_e64 v100, 0x3b76, v128
	v_sub_f16_e64 v94, v145, v94
	v_fma_f16 v141, v106, 0xb461, -v140
	v_add_f16_e32 v36, v101, v36
	v_sub_f16_e64 v97, v170, v97
	v_add_f16_e32 v45, v100, v45
	v_add_f16_e32 v91, v94, v91
	v_mul_f16_e32 v94, 0xbb29, v126
	s_delay_alu instid0(VALU_DEP_1) | instskip(NEXT) | instid1(VALU_DEP_1)
	v_sub_f16_e64 v94, v150, v94
	v_add_f16_e32 v91, v94, v91
	v_mul_f16_e64 v94, 0xb836, v129
	s_delay_alu instid0(VALU_DEP_1) | instskip(NEXT) | instid1(VALU_DEP_1)
	v_sub_f16_e64 v94, v157, v94
	v_add_f16_e32 v91, v94, v91
	v_mul_f16_e32 v94, 0x3722, v120
	s_delay_alu instid0(VALU_DEP_2) | instskip(NEXT) | instid1(VALU_DEP_2)
	v_add_f16_e32 v91, v97, v91
	v_add_f16_e64 v94, v94, v146
	v_mul_f16_e64 v97, 0x3964, v137
	s_delay_alu instid0(VALU_DEP_2) | instskip(SKIP_1) | instid1(VALU_DEP_3)
	v_add_f16_e32 v38, v94, v38
	v_mul_f16_e32 v94, 0xbacd, v124
	v_sub_f16_e64 v97, v175, v97
	s_delay_alu instid0(VALU_DEP_2) | instskip(NEXT) | instid1(VALU_DEP_2)
	v_add_f16_e64 v94, v94, v155
	v_add_f16_e32 v91, v97, v91
	s_delay_alu instid0(VALU_DEP_2) | instskip(SKIP_1) | instid1(VALU_DEP_1)
	v_add_f16_e32 v38, v94, v38
	v_mul_f16_e64 v94, 0xb8d2, v128
	v_add_f16_e64 v94, v94, v164
	s_delay_alu instid0(VALU_DEP_1) | instskip(SKIP_1) | instid1(VALU_DEP_1)
	v_add_f16_e32 v38, v94, v38
	v_mul_f16_e64 v94, 0x39e9, v133
	v_add_f16_e64 v94, v94, v172
	s_delay_alu instid0(VALU_DEP_1) | instskip(SKIP_1) | instid1(VALU_DEP_2)
	v_add_f16_e32 v38, v94, v38
	v_mul_f16_e64 v94, 0xba62, v135
	v_pack_b32_f16 v38, v38, v91
	s_delay_alu instid0(VALU_DEP_2) | instskip(SKIP_1) | instid1(VALU_DEP_2)
	v_fma_f16 v97, v133, 0xb8d2, -v94
	v_fmac_f16_e64 v94, 0xb8d2, v133
	v_add_f16_e32 v36, v97, v36
	s_delay_alu instid0(VALU_DEP_2) | instskip(NEXT) | instid1(VALU_DEP_1)
	v_add_f16_e32 v45, v94, v45
	v_pack_b32_f16 v37, v45, v37
	v_mul_f16_e32 v45, 0x3b29, v113
	s_delay_alu instid0(VALU_DEP_1) | instskip(NEXT) | instid1(VALU_DEP_1)
	v_fma_f16 v91, v106, 0x3722, -v45
	v_add_f16_e32 v40, v91, v40
	v_mul_f16_e32 v91, 0xbbf7, v117
	s_delay_alu instid0(VALU_DEP_1) | instskip(NEXT) | instid1(VALU_DEP_1)
	v_fma_f16 v94, v107, 0x2de8, -v91
	v_add_f16_e32 v40, v94, v40
	;; [unrolled: 4-line block ×4, first 2 shown]
	v_mul_f16_e64 v102, 0xb1e1, v129
	s_delay_alu instid0(VALU_DEP_1) | instskip(NEXT) | instid1(VALU_DEP_1)
	v_fma_f16 v103, v118, 0xbbdd, -v102
	v_add_f16_e32 v40, v103, v40
	v_mul_f16_e32 v103, 0x3b29, v111
	s_delay_alu instid0(VALU_DEP_1) | instskip(SKIP_1) | instid1(VALU_DEP_2)
	v_fma_f16 v104, v108, 0x3722, -v103
	v_fmac_f16_e32 v103, 0x3722, v108
	v_add_f16_e32 v33, v104, v33
	s_delay_alu instid0(VALU_DEP_2) | instskip(SKIP_1) | instid1(VALU_DEP_1)
	v_add_f16_e32 v42, v103, v42
	v_mul_f16_e64 v103, 0x3964, v136
	v_fma_f16 v131, v122, 0x39e9, -v103
	s_delay_alu instid0(VALU_DEP_1) | instskip(SKIP_1) | instid1(VALU_DEP_1)
	v_add_f16_e64 v40, v131, v40
	v_mul_f16_e64 v131, 0xbbf7, v115
	v_fma_f16 v132, v112, 0x2de8, -v131
	v_fmac_f16_e64 v131, 0x2de8, v112
	s_delay_alu instid0(VALU_DEP_2) | instskip(NEXT) | instid1(VALU_DEP_2)
	v_add_f16_e64 v33, v132, v33
	v_add_f16_e64 v42, v131, v42
	v_mul_f16_e64 v131, 0xbbb2, v137
	s_delay_alu instid0(VALU_DEP_1) | instskip(NEXT) | instid1(VALU_DEP_1)
	v_fma_f16 v134, v125, 0xb461, -v131
	v_add_f16_e64 v40, v134, v40
	v_mul_f16_e64 v134, 0x3a62, v119
	s_delay_alu instid0(VALU_DEP_1) | instskip(SKIP_1) | instid1(VALU_DEP_2)
	v_fma_f16 v138, v116, 0xb8d2, -v134
	v_fmac_f16_e64 v134, 0xb8d2, v116
	v_add_f16_e64 v33, v138, v33
	s_delay_alu instid0(VALU_DEP_2) | instskip(SKIP_1) | instid1(VALU_DEP_1)
	v_add_f16_e64 v42, v134, v42
	v_mul_f16_e64 v134, 0xba62, v109
	v_fma_f16 v139, v105, 0xb8d2, -v134
	s_delay_alu instid0(VALU_DEP_1) | instskip(NEXT) | instid1(VALU_DEP_1)
	v_add_f16_e64 v139, v87, v139
	v_add_f16_e64 v139, v141, v139
	v_mul_f16_e64 v141, 0xb5c8, v123
	s_delay_alu instid0(VALU_DEP_1) | instskip(SKIP_1) | instid1(VALU_DEP_2)
	v_fma_f16 v142, v120, 0x3b76, -v141
	v_fmac_f16_e64 v141, 0x3b76, v120
	v_add_f16_e64 v33, v142, v33
	s_delay_alu instid0(VALU_DEP_2) | instskip(SKIP_1) | instid1(VALU_DEP_1)
	v_add_f16_e64 v42, v141, v42
	v_mul_f16_e64 v141, 0xb5c8, v117
	v_fma_f16 v143, v107, 0x3b76, -v141
	s_delay_alu instid0(VALU_DEP_1) | instskip(SKIP_1) | instid1(VALU_DEP_1)
	v_add_f16_e64 v139, v143, v139
	v_mul_f16_e64 v143, 0xb1e1, v127
	v_fma_f16 v144, v124, 0xbbdd, -v143
	v_fmac_f16_e64 v143, 0xbbdd, v124
	s_delay_alu instid0(VALU_DEP_2) | instskip(NEXT) | instid1(VALU_DEP_2)
	v_add_f16_e64 v33, v144, v33
	v_add_f16_e64 v42, v143, v42
	v_mul_f16_e64 v143, 0xb836, v121
	s_delay_alu instid0(VALU_DEP_1) | instskip(NEXT) | instid1(VALU_DEP_1)
	v_fma_f16 v145, v110, 0xbacd, -v143
	v_add_f16_e64 v139, v145, v139
	v_mul_f16_e64 v145, 0x3964, v130
	s_delay_alu instid0(VALU_DEP_1) | instskip(SKIP_1) | instid1(VALU_DEP_2)
	v_fma_f16 v146, v128, 0x39e9, -v145
	v_fmac_f16_e64 v145, 0x39e9, v128
	v_add_f16_e64 v33, v146, v33
	s_delay_alu instid0(VALU_DEP_2) | instskip(SKIP_1) | instid1(VALU_DEP_1)
	v_add_f16_e64 v42, v145, v42
	v_mul_f16_e64 v145, 0x3bf7, v126
	v_fma_f16 v147, v114, 0x2de8, -v145
	s_delay_alu instid0(VALU_DEP_1) | instskip(SKIP_1) | instid1(VALU_DEP_1)
	v_add_f16_e64 v139, v147, v139
	v_mul_f16_e64 v147, 0xbbb2, v135
	v_fma_f16 v148, v133, 0xb461, -v147
	v_fmac_f16_e64 v147, 0xb461, v133
	s_delay_alu instid0(VALU_DEP_2) | instskip(NEXT) | instid1(VALU_DEP_2)
	v_add_f16_e64 v33, v148, v33
	v_add_f16_e64 v42, v147, v42
	v_mul_f16_e64 v147, 0xb964, v129
	s_delay_alu instid0(VALU_DEP_2) | instskip(NEXT) | instid1(VALU_DEP_2)
	v_pack_b32_f16 v40, v42, v40
	v_fma_f16 v149, v118, 0x39e9, -v147
	s_delay_alu instid0(VALU_DEP_1) | instskip(SKIP_2) | instid1(VALU_DEP_2)
	v_add_f16_e64 v139, v149, v139
	v_mul_f16_e64 v149, 0x3bb2, v111
	v_mul_f16_e32 v111, 0x35c8, v111
	v_fma_f16 v150, v108, 0xb461, -v149
	v_fmac_f16_e64 v149, 0xb461, v108
	s_delay_alu instid0(VALU_DEP_2) | instskip(NEXT) | instid1(VALU_DEP_2)
	v_add_f16_e64 v34, v150, v34
	v_add_f16_e64 v46, v149, v46
	v_mul_f16_e64 v149, 0xb1e1, v136
	s_delay_alu instid0(VALU_DEP_1) | instskip(NEXT) | instid1(VALU_DEP_1)
	v_fma_f16 v151, v122, 0xbbdd, -v149
	v_add_f16_e64 v139, v151, v139
	v_mul_f16_e64 v151, 0xb5c8, v115
	v_mul_f16_e32 v115, 0xb836, v115
	s_delay_alu instid0(VALU_DEP_2) | instskip(SKIP_1) | instid1(VALU_DEP_2)
	v_fma_f16 v152, v112, 0x3b76, -v151
	v_fmac_f16_e64 v151, 0x3b76, v112
	v_add_f16_e64 v34, v152, v34
	s_delay_alu instid0(VALU_DEP_2) | instskip(SKIP_1) | instid1(VALU_DEP_1)
	v_add_f16_e64 v46, v151, v46
	v_mul_f16_e64 v151, 0x3b29, v137
	v_fma_f16 v153, v125, 0x3722, -v151
	s_delay_alu instid0(VALU_DEP_1) | instskip(SKIP_2) | instid1(VALU_DEP_2)
	v_add_f16_e64 v139, v153, v139
	v_mul_f16_e64 v153, 0xb836, v119
	v_mul_f16_e32 v119, 0x3964, v119
	v_fma_f16 v154, v116, 0xbacd, -v153
	v_fmac_f16_e64 v153, 0xbacd, v116
	s_delay_alu instid0(VALU_DEP_2) | instskip(NEXT) | instid1(VALU_DEP_2)
	v_add_f16_e64 v34, v154, v34
	v_add_f16_e64 v46, v153, v46
	v_mul_f16_e64 v153, 0x3bf7, v123
	s_delay_alu instid0(VALU_DEP_1) | instskip(SKIP_1) | instid1(VALU_DEP_2)
	v_fma_f16 v155, v120, 0x2de8, -v153
	v_fmac_f16_e64 v153, 0x2de8, v120
	v_add_f16_e64 v34, v155, v34
	s_delay_alu instid0(VALU_DEP_2) | instskip(SKIP_1) | instid1(VALU_DEP_1)
	v_add_f16_e64 v46, v153, v46
	v_mul_f16_e64 v153, 0xb964, v127
	v_fma_f16 v156, v124, 0x39e9, -v153
	v_fmac_f16_e64 v153, 0x39e9, v124
	s_delay_alu instid0(VALU_DEP_2) | instskip(NEXT) | instid1(VALU_DEP_2)
	v_add_f16_e64 v34, v156, v34
	v_add_f16_e64 v46, v153, v46
	v_mul_f16_e64 v153, 0xb1e1, v130
	s_delay_alu instid0(VALU_DEP_1) | instskip(SKIP_1) | instid1(VALU_DEP_2)
	v_fma_f16 v157, v128, 0xbbdd, -v153
	v_fmac_f16_e64 v153, 0xbbdd, v128
	v_add_f16_e64 v34, v157, v34
	s_delay_alu instid0(VALU_DEP_2) | instskip(SKIP_1) | instid1(VALU_DEP_1)
	v_add_f16_e64 v46, v153, v46
	v_mul_f16_e64 v153, 0x3b29, v135
	v_fma_f16 v158, v133, 0x3722, -v153
	v_fmac_f16_e64 v153, 0x3722, v133
	s_delay_alu instid0(VALU_DEP_2) | instskip(NEXT) | instid1(VALU_DEP_2)
	v_add_f16_e64 v34, v158, v34
	v_add_f16_e64 v46, v153, v46
	s_delay_alu instid0(VALU_DEP_1) | instskip(SKIP_4) | instid1(VALU_DEP_2)
	v_pack_b32_f16 v42, v46, v139
	ds_store_2addr_b32 v43, v38, v37 offset0:4 offset1:5
	ds_store_2addr_b32 v43, v42, v40 offset0:6 offset1:7
	v_mul_f16_e32 v37, 0xb1e1, v109
	v_mul_f16_e32 v38, 0x35c8, v113
	v_fmamk_f16 v40, v105, 0xbbdd, v37
	s_delay_alu instid0(VALU_DEP_2) | instskip(SKIP_2) | instid1(VALU_DEP_4)
	v_fmamk_f16 v42, v106, 0x3b76, v38
	v_fma_f16 v37, v105, 0xbbdd, -v37
	v_fma_f16 v38, v106, 0x3b76, -v38
	v_add_f16_e32 v40, v87, v40
	s_delay_alu instid0(VALU_DEP_3) | instskip(NEXT) | instid1(VALU_DEP_2)
	v_add_f16_e32 v37, v87, v37
	v_add_f16_e32 v40, v42, v40
	v_mul_f16_e32 v42, 0xb836, v117
	s_delay_alu instid0(VALU_DEP_3) | instskip(SKIP_1) | instid1(VALU_DEP_3)
	v_add_f16_e32 v37, v38, v37
	v_mul_f16_e32 v38, 0xba62, v123
	v_fmamk_f16 v46, v107, 0xbacd, v42
	v_fma_f16 v42, v107, 0xbacd, -v42
	s_delay_alu instid0(VALU_DEP_2) | instskip(SKIP_1) | instid1(VALU_DEP_3)
	v_add_f16_e32 v40, v46, v40
	v_mul_f16_e32 v46, 0x3964, v121
	v_add_f16_e32 v37, v42, v37
	v_mul_f16_e32 v42, 0x3b29, v127
	s_delay_alu instid0(VALU_DEP_3) | instskip(SKIP_1) | instid1(VALU_DEP_2)
	v_fmamk_f16 v109, v110, 0x39e9, v46
	v_fma_f16 v46, v110, 0x39e9, -v46
	v_add_f16_e32 v40, v109, v40
	v_mul_f16_e32 v109, 0xba62, v126
	s_delay_alu instid0(VALU_DEP_3) | instskip(SKIP_1) | instid1(VALU_DEP_3)
	v_add_f16_e32 v37, v46, v37
	v_mul_f16_e64 v46, 0x3bf7, v137
	v_fmamk_f16 v113, v114, 0xb8d2, v109
	v_fma_f16 v109, v114, 0xb8d2, -v109
	s_delay_alu instid0(VALU_DEP_2) | instskip(SKIP_1) | instid1(VALU_DEP_3)
	v_add_f16_e32 v40, v113, v40
	v_mul_f16_e64 v113, 0x3b29, v129
	v_add_f16_e32 v37, v109, v37
	v_mul_f16_e64 v109, 0x3bf7, v135
	s_delay_alu instid0(VALU_DEP_3) | instskip(NEXT) | instid1(VALU_DEP_1)
	v_fmamk_f16 v117, v118, 0x3722, v113
	v_add_f16_e32 v40, v117, v40
	v_fma_f16 v117, v108, 0x3b76, -v111
	v_fmac_f16_e32 v111, 0x3b76, v108
	v_fmamk_f16 v108, v125, 0x2de8, v46
	s_delay_alu instid0(VALU_DEP_3) | instskip(SKIP_1) | instid1(VALU_DEP_4)
	v_add_f16_e32 v47, v117, v47
	v_mul_f16_e64 v117, 0xbbb2, v136
	v_add_f16_e32 v41, v111, v41
	s_delay_alu instid0(VALU_DEP_2) | instskip(NEXT) | instid1(VALU_DEP_1)
	v_fmamk_f16 v121, v122, 0xb461, v117
	v_add_f16_e32 v40, v121, v40
	v_fma_f16 v121, v112, 0xbacd, -v115
	v_fmac_f16_e32 v115, 0xbacd, v112
	s_delay_alu instid0(VALU_DEP_3) | instskip(NEXT) | instid1(VALU_DEP_3)
	v_add_f16_e32 v40, v108, v40
	v_add_f16_e32 v47, v121, v47
	v_fma_f16 v121, v116, 0x39e9, -v119
	s_delay_alu instid0(VALU_DEP_4) | instskip(SKIP_2) | instid1(VALU_DEP_4)
	v_add_f16_e32 v41, v115, v41
	v_fmac_f16_e32 v119, 0x39e9, v116
	v_mul_f16_e64 v108, 0xbbb2, v130
	v_add_f16_e32 v47, v121, v47
	v_fma_f16 v121, v120, 0xb8d2, -v38
	s_delay_alu instid0(VALU_DEP_4)
	v_add_f16_e32 v41, v119, v41
	v_fmac_f16_e32 v38, 0xb8d2, v120
	v_fma_f16 v111, v128, 0xb461, -v108
	v_fmac_f16_e64 v108, 0xb461, v128
	v_add_f16_e32 v47, v121, v47
	v_fma_f16 v121, v124, 0x3722, -v42
	v_add_f16_e32 v38, v38, v41
	v_fma_f16 v41, v118, 0x3722, -v113
	v_fmac_f16_e32 v42, 0x3722, v124
	s_delay_alu instid0(VALU_DEP_4) | instskip(NEXT) | instid1(VALU_DEP_3)
	v_add_f16_e32 v47, v121, v47
	v_add_f16_e32 v37, v41, v37
	v_fma_f16 v41, v122, 0xb461, -v117
	s_delay_alu instid0(VALU_DEP_4)
	v_add_f16_e32 v38, v42, v38
	v_fmamk_f16 v42, v110, 0x3722, v51
	v_add_f16_e32 v47, v111, v47
	v_fma_f16 v111, v133, 0x2de8, -v109
	v_add_f16_e32 v37, v41, v37
	v_fma_f16 v41, v125, 0x2de8, -v46
	v_add_f16_e32 v38, v108, v38
	v_fmac_f16_e64 v109, 0x2de8, v133
	v_add_f16_e32 v47, v111, v47
	s_delay_alu instid0(VALU_DEP_4)
	v_add_f16_e32 v37, v41, v37
	v_fmamk_f16 v41, v106, 0xbacd, v44
	v_fmamk_f16 v44, v106, 0x3722, v45
	;; [unrolled: 1-line block ×3, first 2 shown]
	v_add_f16_e32 v38, v109, v38
	v_pack_b32_f16 v40, v47, v40
	v_add_f16_e32 v35, v41, v35
	v_fmamk_f16 v41, v107, 0x39e9, v48
	v_add_f16_e32 v39, v44, v39
	v_fmamk_f16 v44, v107, 0x2de8, v91
	v_pack_b32_f16 v37, v38, v37
	v_perm_b32 v38, v83, v29, 0x5040100
	v_add_f16_e32 v35, v41, v35
	v_fma_f16 v41, 0xb8d2, v105, v134
	v_add_f16_e32 v39, v44, v39
	v_fmamk_f16 v44, v110, 0xb8d2, v94
	s_delay_alu instid0(VALU_DEP_4) | instskip(NEXT) | instid1(VALU_DEP_4)
	v_add_f16_e32 v35, v42, v35
	v_add_f16_e32 v41, v87, v41
	v_fma_f16 v42, 0xb461, v106, v140
	s_delay_alu instid0(VALU_DEP_4)
	v_add_f16_e32 v39, v44, v39
	v_fmamk_f16 v44, v114, 0x3b76, v100
	v_add_f16_e32 v35, v45, v35
	v_fmamk_f16 v45, v118, 0x2de8, v93
	v_add_f16_e32 v41, v42, v41
	v_fma_f16 v42, 0x3b76, v107, v141
	v_add_f16_e32 v39, v44, v39
	v_fmamk_f16 v44, v118, 0xbbdd, v102
	v_add_f16_e32 v35, v45, v35
	v_fmamk_f16 v45, v122, 0x3b76, v96
	v_add_f16_e32 v41, v42, v41
	v_fma_f16 v42, 0xbacd, v110, v143
	v_add_f16_e32 v39, v44, v39
	v_fmamk_f16 v44, v122, 0x39e9, v103
	v_add_f16_e32 v35, v45, v35
	v_fma_f16 v45, 0xb461, v125, v131
	v_add_f16_e32 v41, v42, v41
	v_fma_f16 v42, 0x2de8, v114, v145
	v_add_f16_e32 v39, v44, v39
	v_fmamk_f16 v44, v125, 0xb8d2, v98
	s_delay_alu instid0(VALU_DEP_3) | instskip(SKIP_1) | instid1(VALU_DEP_4)
	v_add_f16_e32 v41, v42, v41
	v_fma_f16 v42, 0x39e9, v118, v147
	v_add_f16_e32 v39, v45, v39
	s_delay_alu instid0(VALU_DEP_4) | instskip(NEXT) | instid1(VALU_DEP_3)
	v_add_f16_e32 v35, v44, v35
	v_add_f16_e32 v41, v42, v41
	v_fma_f16 v42, 0xbbdd, v122, v149
	s_delay_alu instid0(VALU_DEP_4) | instskip(NEXT) | instid1(VALU_DEP_4)
	v_pack_b32_f16 v33, v33, v39
	v_pack_b32_f16 v35, v36, v35
	v_perm_b32 v36, v85, v31, 0x5040100
	v_perm_b32 v39, v86, v32, 0x5040100
	v_add_f16_e32 v41, v42, v41
	v_fma_f16 v42, 0x3722, v125, v151
	s_delay_alu instid0(VALU_DEP_1) | instskip(NEXT) | instid1(VALU_DEP_1)
	v_add_f16_e32 v41, v42, v41
	v_pack_b32_f16 v34, v34, v41
	v_perm_b32 v41, v84, v30, 0x5040100
	ds_store_2addr_b32 v43, v37, v40 offset0:8 offset1:9
	ds_store_2addr_b32 v43, v33, v34 offset0:10 offset1:11
	;; [unrolled: 1-line block ×4, first 2 shown]
	ds_store_b32 v43, v41 offset:64
.LBB0_17:
	s_wait_alu 0xfffe
	s_or_b32 exec_lo, exec_lo, s1
	global_wb scope:SCOPE_SE
	s_wait_dscnt 0x0
	s_barrier_signal -1
	s_barrier_wait -1
	v_add_nc_u32_e32 v33, 0x400, v49
	global_inv scope:SCOPE_SE
	ds_load_2addr_b32 v[35:36], v49 offset1:153
	v_add_nc_u32_e32 v34, 0x800, v49
	v_add_nc_u32_e32 v41, 0xe00, v49
	ds_load_2addr_b32 v[37:38], v33 offset0:50 offset1:203
	v_add_nc_u32_e32 v43, 0x1200, v49
	v_add_nc_u32_e32 v33, 0x1700, v49
	ds_load_2addr_b32 v[39:40], v34 offset0:100 offset1:253
	ds_load_2addr_b32 v[41:42], v41 offset0:22 offset1:175
	;; [unrolled: 1-line block ×4, first 2 shown]
	ds_load_b32 v47, v49 offset:7344
	global_wb scope:SCOPE_SE
	s_wait_dscnt 0x0
	s_barrier_signal -1
	s_barrier_wait -1
	global_inv scope:SCOPE_SE
	v_lshrrev_b32_e32 v34, 16, v36
	v_lshrrev_b32_e32 v48, 16, v35
	;; [unrolled: 1-line block ×4, first 2 shown]
	s_delay_alu instid0(VALU_DEP_4)
	v_mul_f16_e32 v96, v71, v34
	v_mul_f16_e32 v71, v71, v36
	v_lshrrev_b32_e32 v88, 16, v39
	v_lshrrev_b32_e32 v89, 16, v40
	v_mul_f16_e32 v98, v70, v51
	v_mul_f16_e32 v70, v70, v37
	v_fmac_f16_e32 v96, v16, v36
	v_mul_f16_e32 v36, v69, v87
	v_fma_f16 v71, v16, v34, -v71
	v_mul_f16_e32 v16, v69, v38
	v_lshrrev_b32_e32 v90, 16, v41
	v_fmac_f16_e32 v98, v17, v37
	v_fma_f16 v37, v17, v51, -v70
	v_fmac_f16_e32 v36, v18, v38
	v_mul_f16_e32 v38, v68, v88
	v_mul_f16_e32 v17, v68, v39
	v_mul_f16_e32 v34, v67, v89
	v_fma_f16 v51, v18, v87, -v16
	v_mul_f16_e32 v18, v67, v40
	v_fmac_f16_e32 v38, v19, v39
	v_fma_f16 v39, v19, v88, -v17
	v_fmac_f16_e32 v34, v12, v40
	v_mul_f16_e32 v16, v65, v90
	v_fma_f16 v19, v12, v89, -v18
	v_mul_f16_e32 v12, v65, v41
	v_add_f16_e32 v65, v48, v71
	v_lshrrev_b32_e32 v91, 16, v42
	v_add_f16_e32 v40, v35, v96
	v_fmac_f16_e32 v16, v13, v41
	v_fma_f16 v18, v13, v90, -v12
	v_add_f16_e32 v13, v65, v37
	v_lshrrev_b32_e32 v92, 16, v43
	v_mul_f16_e32 v17, v58, v91
	v_add_f16_e32 v12, v40, v98
	v_mul_f16_e32 v40, v58, v42
	v_add_f16_e32 v13, v13, v51
	v_lshrrev_b32_e32 v93, 16, v44
	v_fmac_f16_e32 v17, v14, v42
	v_mul_f16_e32 v41, v56, v92
	v_add_f16_e32 v12, v12, v36
	v_fma_f16 v14, v14, v91, -v40
	v_mul_f16_e32 v40, v56, v43
	v_add_f16_e32 v13, v13, v39
	v_lshrrev_b32_e32 v94, 16, v45
	v_fmac_f16_e32 v41, v15, v43
	v_add_f16_e32 v12, v12, v38
	v_mul_f16_e32 v42, v55, v93
	v_fma_f16 v15, v15, v92, -v40
	v_mul_f16_e32 v40, v55, v44
	v_add_f16_e32 v13, v13, v19
	v_add_f16_e32 v12, v12, v34
	v_fmac_f16_e32 v42, v8, v44
	v_mul_f16_e32 v43, v54, v94
	v_fma_f16 v8, v8, v93, -v40
	v_add_f16_e32 v13, v13, v18
	v_mul_f16_e32 v40, v54, v45
	v_lshrrev_b32_e32 v95, 16, v46
	v_lshrrev_b32_e32 v97, 16, v47
	v_add_f16_e32 v12, v12, v16
	v_fmac_f16_e32 v43, v9, v45
	v_add_f16_e32 v13, v13, v14
	v_fma_f16 v9, v9, v94, -v40
	v_mul_f16_e32 v40, v53, v47
	v_mul_f16_e32 v44, v52, v95
	v_add_f16_e32 v12, v12, v17
	v_add_f16_e32 v13, v13, v15
	v_mul_f16_e32 v45, v53, v97
	v_fma_f16 v40, v11, v97, -v40
	v_fmac_f16_e32 v44, v10, v46
	v_add_f16_e32 v12, v12, v41
	v_mul_f16_e32 v46, v52, v46
	v_add_f16_e32 v13, v13, v8
	v_fmac_f16_e32 v45, v11, v47
	v_sub_f16_e32 v11, v71, v40
	v_add_f16_e32 v12, v12, v42
	v_fma_f16 v10, v10, v95, -v46
	v_add_f16_e32 v13, v13, v9
	v_add_f16_e32 v46, v96, v45
	v_mul_f16_e32 v47, 0xb770, v11
	v_add_f16_e32 v12, v12, v43
	v_add_f16_e32 v52, v71, v40
	;; [unrolled: 1-line block ×3, first 2 shown]
	v_sub_f16_e32 v95, v37, v10
	v_fmamk_f16 v54, v46, 0x3b15, v47
	v_add_f16_e32 v12, v12, v44
	v_sub_f16_e32 v53, v96, v45
	v_mul_f16_e32 v55, 0x3b15, v52
	v_add_f16_e32 v13, v13, v40
	v_add_f16_e32 v40, v35, v54
	v_mul_f16_e32 v54, 0xba95, v11
	v_mul_f16_e32 v56, 0x388b, v52
	;; [unrolled: 1-line block ×10, first 2 shown]
	v_add_f16_e32 v97, v98, v44
	v_mul_f16_e32 v99, 0xba95, v95
	v_add_f16_e32 v10, v37, v10
	v_add_f16_e32 v12, v12, v45
	v_fmamk_f16 v45, v53, 0x3770, v55
	v_fma_f16 v47, v46, 0x3b15, -v47
	v_fmac_f16_e32 v55, 0xb770, v53
	v_fmamk_f16 v58, v46, 0x388b, v54
	v_fmamk_f16 v65, v53, 0x3a95, v56
	v_fma_f16 v54, v46, 0x388b, -v54
	v_fmac_f16_e32 v56, 0xba95, v53
	v_fmamk_f16 v68, v46, 0x2fb7, v67
	;; [unrolled: 4-line block ×5, first 2 shown]
	v_fmamk_f16 v96, v53, 0x33a8, v52
	v_fma_f16 v11, v46, 0xbbc4, -v11
	v_fmac_f16_e32 v52, 0xb3a8, v53
	v_sub_f16_e32 v37, v98, v44
	v_fmamk_f16 v44, v97, 0x388b, v99
	v_mul_f16_e32 v46, 0x388b, v10
	v_add_f16_e32 v45, v48, v45
	v_add_f16_e32 v47, v35, v47
	;; [unrolled: 1-line block ×24, first 2 shown]
	v_fmamk_f16 v44, v37, 0x3a95, v46
	v_mul_f16_e32 v48, 0xbb7b, v95
	v_fma_f16 v52, v97, 0x388b, -v99
	v_fmac_f16_e32 v46, 0xba95, v37
	v_mul_f16_e32 v96, 0xb5ac, v10
	v_add_f16_e32 v44, v44, v45
	v_fmamk_f16 v45, v97, 0xb5ac, v48
	v_add_f16_e32 v47, v52, v47
	v_add_f16_e32 v46, v46, v55
	v_fmamk_f16 v52, v37, 0x3b7b, v96
	v_mul_f16_e32 v55, 0xb3a8, v95
	v_add_f16_e32 v45, v45, v58
	v_fma_f16 v48, v97, 0xb5ac, -v48
	v_fmac_f16_e32 v96, 0xbb7b, v37
	v_add_f16_e32 v52, v52, v65
	v_fmamk_f16 v58, v97, 0xbbc4, v55
	v_mul_f16_e32 v65, 0xbbc4, v10
	v_add_f16_e32 v48, v48, v54
	v_add_f16_e32 v54, v96, v56
	v_mul_f16_e32 v56, 0x394e, v95
	v_add_f16_e32 v58, v58, v68
	v_fmamk_f16 v68, v37, 0x33a8, v65
	v_fmac_f16_e32 v65, 0xb3a8, v37
	v_mul_f16_e32 v98, 0xb9fd, v10
	v_fma_f16 v55, v97, 0xbbc4, -v55
	v_fmamk_f16 v96, v97, 0xb9fd, v56
	v_add_f16_e32 v68, v68, v71
	v_add_f16_e32 v65, v65, v69
	v_fmamk_f16 v69, v37, 0xb94e, v98
	v_mul_f16_e32 v71, 0x3bf1, v95
	v_add_f16_e32 v55, v55, v67
	v_add_f16_e32 v67, v96, v87
	v_fma_f16 v56, v97, 0xb9fd, -v56
	v_mul_f16_e32 v87, 0x2fb7, v10
	v_add_f16_e32 v69, v69, v89
	v_fmamk_f16 v89, v97, 0x2fb7, v71
	v_mul_f16_e32 v95, 0x3770, v95
	v_fma_f16 v71, v97, 0x2fb7, -v71
	v_add_f16_e32 v56, v56, v70
	v_fmamk_f16 v70, v37, 0xbbf1, v87
	v_add_f16_e32 v89, v89, v92
	v_fmac_f16_e32 v87, 0x3bf1, v37
	v_fmamk_f16 v92, v97, 0x3b15, v95
	v_add_f16_e32 v71, v71, v90
	v_sub_f16_e32 v90, v51, v9
	v_add_f16_e32 v70, v70, v93
	v_mul_f16_e32 v10, 0x3b15, v10
	v_add_f16_e32 v87, v87, v91
	v_add_f16_e32 v91, v92, v94
	;; [unrolled: 1-line block ×3, first 2 shown]
	v_mul_f16_e32 v94, 0xbbf1, v90
	v_add_f16_e32 v9, v51, v9
	v_fmac_f16_e32 v98, 0x394e, v37
	v_fmamk_f16 v92, v37, 0xb770, v10
	v_fma_f16 v51, v97, 0x3b15, -v95
	v_fmac_f16_e32 v10, 0x3770, v37
	v_sub_f16_e32 v36, v36, v43
	v_fmamk_f16 v37, v93, 0x2fb7, v94
	v_mul_f16_e32 v43, 0x2fb7, v9
	v_add_f16_e32 v53, v92, v53
	v_add_f16_e32 v11, v51, v11
	;; [unrolled: 1-line block ×4, first 2 shown]
	v_fmamk_f16 v37, v36, 0x3bf1, v43
	v_mul_f16_e32 v40, 0xb3a8, v90
	v_fma_f16 v51, v93, 0x2fb7, -v94
	v_fmac_f16_e32 v43, 0xbbf1, v36
	v_mul_f16_e32 v92, 0xbbc4, v9
	v_add_f16_e32 v37, v37, v44
	v_fmamk_f16 v44, v93, 0xbbc4, v40
	v_add_f16_e32 v47, v51, v47
	v_add_f16_e32 v43, v43, v46
	v_fmamk_f16 v46, v36, 0x33a8, v92
	v_mul_f16_e32 v51, 0x3b7b, v90
	v_fma_f16 v40, v93, 0xbbc4, -v40
	v_fmac_f16_e32 v92, 0xb3a8, v36
	v_add_f16_e32 v44, v44, v45
	v_add_f16_e32 v45, v46, v52
	v_fmamk_f16 v46, v93, 0xb5ac, v51
	v_mul_f16_e32 v52, 0xb5ac, v9
	v_add_f16_e32 v40, v40, v48
	v_add_f16_e32 v48, v92, v54
	v_mul_f16_e32 v54, 0x3770, v90
	v_add_f16_e32 v46, v46, v58
	v_fmamk_f16 v58, v36, 0xbb7b, v52
	v_fma_f16 v51, v93, 0xb5ac, -v51
	v_fmac_f16_e32 v52, 0x3b7b, v36
	v_fmamk_f16 v92, v93, 0x3b15, v54
	v_mul_f16_e32 v94, 0x3b15, v9
	v_add_f16_e32 v58, v58, v68
	v_add_f16_e32 v51, v51, v55
	;; [unrolled: 1-line block ×4, first 2 shown]
	v_fmamk_f16 v65, v36, 0xb770, v94
	v_mul_f16_e32 v67, 0xba95, v90
	v_fma_f16 v54, v93, 0x3b15, -v54
	v_mul_f16_e32 v68, 0x388b, v9
	v_mul_f16_e32 v90, 0xb94e, v90
	v_add_f16_e32 v65, v65, v69
	v_fmamk_f16 v69, v93, 0x388b, v67
	v_add_f16_e32 v54, v54, v56
	v_fmamk_f16 v56, v36, 0x3a95, v68
	v_fma_f16 v67, v93, 0x388b, -v67
	v_fmac_f16_e32 v68, 0xba95, v36
	v_add_f16_e32 v69, v69, v89
	v_mul_f16_e32 v9, 0xb9fd, v9
	v_add_f16_e32 v56, v56, v70
	v_fmamk_f16 v70, v93, 0xb9fd, v90
	v_add_f16_e32 v67, v67, v71
	v_sub_f16_e32 v71, v39, v8
	v_add_f16_e32 v89, v38, v42
	v_add_f16_e32 v8, v39, v8
	;; [unrolled: 1-line block ×3, first 2 shown]
	v_fmac_f16_e32 v94, 0x3770, v36
	v_mul_f16_e32 v91, 0xbb7b, v71
	v_add_f16_e32 v68, v68, v87
	v_fmamk_f16 v87, v36, 0x394e, v9
	v_fma_f16 v39, v93, 0xb9fd, -v90
	v_fmac_f16_e32 v9, 0xb94e, v36
	v_sub_f16_e32 v36, v38, v42
	v_fmamk_f16 v38, v89, 0xb5ac, v91
	v_mul_f16_e32 v42, 0xb5ac, v8
	v_add_f16_e32 v53, v87, v53
	v_add_f16_e32 v11, v39, v11
	;; [unrolled: 1-line block ×4, first 2 shown]
	v_fmamk_f16 v35, v36, 0x3b7b, v42
	v_mul_f16_e32 v38, 0x394e, v71
	v_fma_f16 v39, v89, 0xb5ac, -v91
	v_fmac_f16_e32 v42, 0xbb7b, v36
	v_mul_f16_e32 v87, 0xb9fd, v8
	v_add_f16_e32 v35, v35, v37
	v_fmamk_f16 v37, v89, 0xb9fd, v38
	v_add_f16_e32 v39, v39, v47
	v_add_f16_e32 v42, v42, v43
	v_fmamk_f16 v43, v36, 0xb94e, v87
	v_mul_f16_e32 v47, 0x3770, v71
	v_fma_f16 v38, v89, 0xb9fd, -v38
	v_fmac_f16_e32 v87, 0x394e, v36
	v_add_f16_e32 v37, v37, v44
	v_add_f16_e32 v43, v43, v45
	v_fmamk_f16 v44, v89, 0x3b15, v47
	v_mul_f16_e32 v45, 0x3b15, v8
	v_add_f16_e32 v38, v38, v40
	v_add_f16_e32 v40, v87, v48
	v_mul_f16_e32 v48, 0xbbf1, v71
	v_add_f16_e32 v44, v44, v46
	v_fmamk_f16 v46, v36, 0xb770, v45
	v_fma_f16 v47, v89, 0x3b15, -v47
	v_fmac_f16_e32 v45, 0x3770, v36
	v_fmamk_f16 v87, v89, 0x2fb7, v48
	v_mul_f16_e32 v90, 0x2fb7, v8
	v_add_f16_e32 v46, v46, v58
	v_add_f16_e32 v47, v47, v51
	;; [unrolled: 1-line block ×4, first 2 shown]
	v_fmamk_f16 v52, v36, 0x3bf1, v90
	v_mul_f16_e32 v55, 0x33a8, v71
	v_fma_f16 v48, v89, 0x2fb7, -v48
	v_mul_f16_e32 v58, 0xbbc4, v8
	v_mul_f16_e32 v71, 0x3a95, v71
	v_add_f16_e32 v52, v52, v65
	v_fmamk_f16 v65, v89, 0xbbc4, v55
	v_add_f16_e32 v48, v48, v54
	v_fmamk_f16 v54, v36, 0xb3a8, v58
	v_fma_f16 v55, v89, 0xbbc4, -v55
	v_fmac_f16_e32 v58, 0x33a8, v36
	v_add_f16_e32 v65, v65, v69
	v_mul_f16_e32 v8, 0x388b, v8
	v_add_f16_e32 v54, v54, v56
	v_fmamk_f16 v56, v89, 0x388b, v71
	v_add_f16_e32 v55, v55, v67
	v_sub_f16_e32 v67, v19, v15
	v_add_f16_e32 v69, v34, v41
	v_add_f16_e32 v15, v19, v15
	;; [unrolled: 1-line block ×3, first 2 shown]
	v_fmac_f16_e32 v90, 0xbbf1, v36
	v_mul_f16_e32 v70, 0xb94e, v67
	v_add_f16_e32 v58, v58, v68
	v_fmamk_f16 v68, v36, 0xba95, v8
	v_fma_f16 v19, v89, 0x388b, -v71
	v_fmac_f16_e32 v8, 0x3a95, v36
	v_sub_f16_e32 v34, v34, v41
	v_fmamk_f16 v36, v69, 0xb9fd, v70
	v_mul_f16_e32 v41, 0xb9fd, v15
	v_add_f16_e32 v53, v68, v53
	v_add_f16_e32 v11, v19, v11
	;; [unrolled: 1-line block ×4, first 2 shown]
	v_fmamk_f16 v10, v34, 0x394e, v41
	v_mul_f16_e32 v19, 0x3bf1, v67
	v_fma_f16 v36, v69, 0xb9fd, -v70
	v_fmac_f16_e32 v41, 0xb94e, v34
	v_mul_f16_e32 v68, 0x2fb7, v15
	v_add_f16_e32 v10, v10, v35
	v_fmamk_f16 v35, v69, 0x2fb7, v19
	v_add_f16_e32 v36, v36, v39
	v_add_f16_e32 v39, v41, v42
	v_fmamk_f16 v41, v34, 0xbbf1, v68
	v_mul_f16_e32 v42, 0xba95, v67
	v_add_f16_e32 v37, v35, v37
	v_fma_f16 v19, v69, 0x2fb7, -v19
	v_fmac_f16_e32 v68, 0x3bf1, v34
	v_add_f16_e32 v41, v41, v43
	v_fmamk_f16 v35, v69, 0x388b, v42
	v_mul_f16_e32 v43, 0x388b, v15
	v_add_f16_e32 v19, v19, v38
	v_add_f16_e32 v38, v68, v40
	v_mul_f16_e32 v40, 0x33a8, v67
	v_add_f16_e32 v44, v35, v44
	v_fmamk_f16 v35, v34, 0x3a95, v43
	v_fma_f16 v42, v69, 0x388b, -v42
	v_mul_f16_e32 v70, 0xbbc4, v15
	v_fmac_f16_e32 v43, 0xba95, v34
	v_fmamk_f16 v68, v69, 0xbbc4, v40
	v_add_f16_e32 v46, v35, v46
	v_add_f16_e32 v42, v42, v47
	v_fmamk_f16 v35, v34, 0xb3a8, v70
	v_mul_f16_e32 v47, 0x3770, v67
	v_add_f16_e32 v43, v43, v45
	v_add_f16_e32 v45, v68, v51
	v_fma_f16 v40, v69, 0xbbc4, -v40
	v_mul_f16_e32 v51, 0x3b15, v15
	v_add_f16_e32 v52, v35, v52
	v_fmamk_f16 v35, v69, 0x3b15, v47
	v_mul_f16_e32 v67, 0xbb7b, v67
	v_add_f16_e32 v40, v40, v48
	v_fmamk_f16 v48, v34, 0xb770, v51
	v_fmac_f16_e32 v51, 0x3770, v34
	v_add_f16_e32 v65, v35, v65
	v_fma_f16 v35, v69, 0x3b15, -v47
	v_mul_f16_e32 v15, 0xb5ac, v15
	v_add_f16_e32 v47, v48, v54
	v_fmamk_f16 v48, v69, 0xb5ac, v67
	v_add_f16_e32 v51, v51, v58
	v_add_f16_e32 v54, v35, v55
	v_sub_f16_e32 v55, v18, v14
	v_add_f16_e32 v14, v18, v14
	v_add_f16_e32 v48, v48, v56
	;; [unrolled: 1-line block ×3, first 2 shown]
	v_fmac_f16_e32 v70, 0x33a8, v34
	v_mul_f16_e32 v58, 0xb3a8, v55
	v_fmamk_f16 v35, v34, 0x3b7b, v15
	v_fmac_f16_e32 v15, 0xbb7b, v34
	v_sub_f16_e32 v16, v16, v17
	v_mul_f16_e32 v34, 0xbbc4, v14
	v_fmamk_f16 v17, v56, 0xbbc4, v58
	v_fma_f16 v18, v69, 0xb5ac, -v67
	v_add_f16_e32 v15, v15, v8
	v_add_f16_e32 v53, v35, v53
	v_fmamk_f16 v8, v16, 0x33a8, v34
	v_add_f16_e32 v17, v17, v9
	v_mul_f16_e32 v9, 0x3770, v55
	v_fmac_f16_e32 v34, 0xb3a8, v16
	v_add_f16_e32 v18, v18, v11
	v_fma_f16 v11, v56, 0xbbc4, -v58
	v_mul_f16_e32 v58, 0x3b15, v14
	v_add_f16_e32 v67, v8, v10
	v_fmamk_f16 v8, v56, 0x3b15, v9
	v_add_f16_e32 v35, v34, v39
	v_mul_f16_e32 v34, 0xb94e, v55
	v_add_f16_e32 v88, v98, v88
	v_add_f16_e32 v11, v11, v36
	v_fmamk_f16 v10, v16, 0xb770, v58
	v_add_f16_e32 v39, v8, v37
	v_fma_f16 v8, v56, 0x3b15, -v9
	v_fmamk_f16 v9, v56, 0xb9fd, v34
	v_mul_f16_e32 v36, 0xb9fd, v14
	v_add_f16_e32 v88, v94, v88
	v_fmac_f16_e32 v58, 0x3770, v16
	v_add_f16_e32 v41, v10, v41
	v_add_f16_e32 v10, v8, v19
	v_mul_f16_e32 v8, 0x3a95, v55
	v_add_f16_e32 v19, v9, v44
	v_fmamk_f16 v9, v16, 0x394e, v36
	v_fma_f16 v34, v56, 0xb9fd, -v34
	v_mul_f16_e32 v44, 0x388b, v14
	v_add_f16_e32 v87, v90, v88
	v_add_f16_e32 v37, v58, v38
	v_fmac_f16_e32 v36, 0xb94e, v16
	v_fmamk_f16 v38, v56, 0x388b, v8
	v_add_f16_e32 v46, v9, v46
	v_add_f16_e32 v9, v34, v42
	v_fmamk_f16 v34, v16, 0xba95, v44
	v_mul_f16_e32 v42, 0xbb7b, v55
	v_add_f16_e32 v68, v70, v87
	v_add_f16_e32 v36, v36, v43
	;; [unrolled: 1-line block ×3, first 2 shown]
	v_fma_f16 v8, v56, 0x388b, -v8
	v_fmac_f16_e32 v44, 0x3a95, v16
	v_mul_f16_e32 v43, 0xb5ac, v14
	v_add_f16_e32 v45, v34, v52
	v_fmamk_f16 v52, v56, 0xb5ac, v42
	v_add_f16_e32 v8, v8, v40
	v_add_f16_e32 v34, v44, v68
	v_fmamk_f16 v40, v16, 0x3b7b, v43
	v_fma_f16 v42, v56, 0xb5ac, -v42
	v_add_f16_e32 v44, v52, v65
	v_mul_f16_e32 v52, 0x3bf1, v55
	v_mul_f16_e32 v14, 0x2fb7, v14
	v_add_f16_e32 v40, v40, v47
	v_add_f16_e32 v42, v42, v54
	v_fmac_f16_e32 v43, 0xbb7b, v16
	v_fmamk_f16 v47, v56, 0x2fb7, v52
	v_fmamk_f16 v54, v16, 0xbbf1, v14
	v_fma_f16 v52, v56, 0x2fb7, -v52
	v_fmac_f16_e32 v14, 0x3bf1, v16
	v_pack_b32_f16 v12, v12, v13
	v_pack_b32_f16 v13, v17, v67
	v_add_f16_e32 v16, v43, v51
	v_add_f16_e32 v43, v47, v48
	;; [unrolled: 1-line block ×5, first 2 shown]
	v_pack_b32_f16 v15, v39, v41
	v_pack_b32_f16 v17, v19, v46
	ds_store_2addr_b32 v72, v12, v13 offset1:17
	ds_store_2addr_b32 v72, v15, v17 offset0:34 offset1:51
	v_pack_b32_f16 v12, v38, v45
	v_pack_b32_f16 v13, v44, v40
	;; [unrolled: 1-line block ×9, first 2 shown]
	ds_store_2addr_b32 v72, v12, v13 offset0:68 offset1:85
	ds_store_2addr_b32 v72, v15, v14 offset0:102 offset1:119
	ds_store_2addr_b32 v72, v16, v17 offset0:136 offset1:153
	ds_store_2addr_b32 v72, v18, v19 offset0:170 offset1:187
	ds_store_b32 v72, v38 offset:816
	v_add_nc_u32_e32 v38, 0x680, v49
	v_add_nc_u32_e32 v39, 0xd80, v49
	v_add_nc_u32_e32 v40, 0x1480, v49
	global_wb scope:SCOPE_SE
	s_wait_dscnt 0x0
	s_barrier_signal -1
	s_barrier_wait -1
	global_inv scope:SCOPE_SE
	ds_load_2addr_b32 v[12:13], v49 offset1:221
	ds_load_2addr_b32 v[18:19], v38 offset0:26 offset1:247
	ds_load_2addr_b32 v[16:17], v39 offset0:20 offset1:241
	;; [unrolled: 1-line block ×3, first 2 shown]
	ds_load_b32 v41, v49 offset:7072
	s_and_saveexec_b32 s1, s0
	s_cbranch_execz .LBB0_19
; %bb.18:
	v_add_nc_u32_e32 v8, 0x200, v49
	v_add_nc_u32_e32 v10, 0x900, v49
	;; [unrolled: 1-line block ×3, first 2 shown]
	ds_load_2addr_b32 v[29:30], v33 offset0:7 offset1:228
	ds_load_2addr_b32 v[8:9], v8 offset0:25 offset1:246
	;; [unrolled: 1-line block ×4, first 2 shown]
	ds_load_b32 v81, v49 offset:7684
	s_wait_dscnt 0x3
	v_lshrrev_b32_e32 v34, 16, v8
	v_lshrrev_b32_e32 v83, 16, v29
	v_lshrrev_b32_e32 v84, 16, v30
	v_lshrrev_b32_e32 v36, 16, v9
	s_wait_dscnt 0x2
	v_lshrrev_b32_e32 v37, 16, v10
	v_lshrrev_b32_e32 v35, 16, v11
	s_wait_dscnt 0x1
	v_lshrrev_b32_e32 v85, 16, v31
	v_lshrrev_b32_e32 v86, 16, v32
	s_wait_dscnt 0x0
	v_lshrrev_b32_e32 v82, 16, v81
.LBB0_19:
	s_wait_alu 0xfffe
	s_or_b32 exec_lo, exec_lo, s1
	s_wait_dscnt 0x4
	v_lshrrev_b32_e32 v33, 16, v13
	s_wait_dscnt 0x3
	v_lshrrev_b32_e32 v43, 16, v18
	v_lshrrev_b32_e32 v44, 16, v19
	s_wait_dscnt 0x2
	v_lshrrev_b32_e32 v45, 16, v16
	v_lshrrev_b32_e32 v47, 16, v17
	v_mul_f16_e32 v46, v80, v33
	v_mul_f16_e32 v53, v79, v43
	;; [unrolled: 1-line block ×5, first 2 shown]
	v_fmac_f16_e32 v46, v20, v13
	v_mul_f16_e32 v13, v80, v13
	s_wait_dscnt 0x1
	v_lshrrev_b32_e32 v48, 16, v14
	v_lshrrev_b32_e32 v51, 16, v15
	s_wait_dscnt 0x0
	v_lshrrev_b32_e32 v52, 16, v41
	v_fmac_f16_e32 v53, v21, v18
	v_fma_f16 v13, v20, v33, -v13
	v_fma_f16 v18, v21, v43, -v54
	v_fmac_f16_e32 v55, v22, v19
	v_fma_f16 v19, v22, v44, -v56
	v_mul_f16_e32 v20, v77, v45
	v_mul_f16_e32 v21, v77, v16
	;; [unrolled: 1-line block ×5, first 2 shown]
	v_fmac_f16_e32 v20, v23, v16
	v_fma_f16 v16, v23, v45, -v21
	v_fmac_f16_e32 v22, v24, v17
	v_fma_f16 v17, v24, v47, -v33
	v_mul_f16_e32 v21, v75, v52
	v_mul_f16_e32 v23, v75, v41
	;; [unrolled: 1-line block ×4, first 2 shown]
	v_fmac_f16_e32 v43, v25, v14
	v_mul_f16_e32 v14, v73, v14
	v_fmac_f16_e32 v21, v27, v41
	v_fma_f16 v23, v27, v52, -v23
	v_fmac_f16_e32 v24, v26, v15
	v_fma_f16 v15, v26, v51, -v33
	v_fma_f16 v14, v25, v48, -v14
	v_add_f16_e32 v25, v46, v21
	v_add_f16_e32 v26, v13, v23
	v_add_f16_e32 v27, v53, v24
	v_add_f16_e32 v33, v18, v15
	v_sub_f16_e32 v21, v46, v21
	v_add_f16_e32 v41, v55, v43
	v_add_f16_e32 v44, v19, v14
	;; [unrolled: 1-line block ×4, first 2 shown]
	v_sub_f16_e32 v13, v13, v23
	v_sub_f16_e32 v23, v53, v24
	v_mul_f16_e32 v24, 0x3924, v21
	v_sub_f16_e32 v47, v16, v17
	v_add_f16_e32 v68, v41, v56
	v_add_f16_e32 v69, v44, v58
	v_sub_f16_e32 v43, v55, v43
	v_fmac_f16_e32 v24, 0x3be1, v23
	v_sub_f16_e32 v46, v20, v22
	v_add_f16_e32 v48, v20, v22
	v_add_f16_e32 v51, v16, v17
	v_mul_f16_e32 v52, 0xb924, v47
	v_add_f16_e32 v20, v20, v68
	v_add_f16_e32 v16, v16, v69
	v_lshrrev_b32_e32 v42, 16, v12
	v_sub_f16_e32 v14, v19, v14
	v_fmac_f16_e32 v24, 0x3aee, v43
	v_fmac_f16_e32 v52, 0x3be1, v13
	v_add_f16_e32 v20, v22, v20
	v_add_f16_e32 v16, v17, v16
	v_fmamk_f16 v53, v48, 0x3a21, v12
	v_sub_f16_e32 v15, v18, v15
	v_mul_f16_e32 v18, 0x3924, v13
	v_fmamk_f16 v19, v25, 0x3a21, v12
	v_fmamk_f16 v45, v26, 0x3a21, v42
	v_fmac_f16_e32 v24, 0x3579, v46
	v_mul_f16_e32 v54, 0xb924, v46
	v_fmamk_f16 v55, v51, 0x3a21, v42
	v_fmac_f16_e32 v52, 0xbaee, v14
	v_add_f16_e32 v65, v46, v21
	v_add_f16_e32 v67, v47, v13
	;; [unrolled: 1-line block ×4, first 2 shown]
	v_mul_f16_e32 v22, 0x3be1, v46
	v_mul_f16_e32 v46, 0x3be1, v47
	v_add_f16_e32 v20, v20, v12
	v_add_f16_e32 v16, v16, v42
	v_fmac_f16_e32 v12, 0x3a21, v27
	v_fmac_f16_e32 v42, 0x3a21, v33
	;; [unrolled: 1-line block ×5, first 2 shown]
	v_sub_f16_e32 v67, v67, v15
	v_fma_f16 v22, v23, 0xb924, -v22
	v_fma_f16 v15, v15, 0xb924, -v46
	v_fmac_f16_e32 v12, 0x318f, v48
	v_fmac_f16_e32 v42, 0x318f, v51
	;; [unrolled: 1-line block ×4, first 2 shown]
	v_fmac_f16_e32 v53, -0.5, v41
	v_fmac_f16_e32 v19, 0x318f, v27
	v_fmac_f16_e32 v45, 0x318f, v33
	;; [unrolled: 1-line block ×4, first 2 shown]
	v_fmac_f16_e32 v12, -0.5, v41
	v_fmac_f16_e32 v42, -0.5, v44
	v_fmac_f16_e32 v54, 0xbaee, v43
	v_fmac_f16_e32 v55, -0.5, v44
	v_fmac_f16_e32 v53, 0xbb84, v27
	v_add_f16_e32 v17, v48, v56
	v_add_f16_e32 v27, v51, v58
	v_fmac_f16_e32 v18, 0x3aee, v14
	v_fmac_f16_e32 v19, -0.5, v41
	v_fmac_f16_e32 v45, -0.5, v44
	v_fmac_f16_e32 v22, 0x3579, v21
	v_fmac_f16_e32 v15, 0x3579, v13
	;; [unrolled: 1-line block ×6, first 2 shown]
	v_sub_f16_e32 v65, v65, v23
	v_fmac_f16_e32 v69, -0.5, v17
	v_fmac_f16_e32 v70, -0.5, v27
	v_fmac_f16_e32 v18, 0x3579, v47
	v_fmac_f16_e32 v19, 0xbb84, v48
	v_fmac_f16_e32 v45, 0xbb84, v51
	v_sub_f16_e32 v12, v12, v15
	v_add_f16_e32 v14, v22, v42
	v_sub_f16_e32 v53, v53, v52
	v_add_f16_e32 v55, v54, v55
	v_mul_f16_e32 v68, 0x3aee, v65
	v_mul_f16_e32 v13, 0x3aee, v67
	v_fmac_f16_e32 v69, 0xbaee, v67
	v_fmac_f16_e32 v70, 0x3aee, v65
	v_sub_f16_e32 v19, v19, v18
	v_add_f16_e32 v45, v24, v45
	v_fma_f16 v15, 2.0, v15, v12
	v_fma_f16 v22, -2.0, v22, v14
	v_fma_f16 v52, 2.0, v52, v53
	v_fma_f16 v17, -2.0, v54, v55
	v_fma_f16 v13, 2.0, v13, v69
	v_fma_f16 v21, -2.0, v68, v70
	v_fma_f16 v18, 2.0, v18, v19
	v_fma_f16 v24, -2.0, v24, v45
	v_pack_b32_f16 v16, v20, v16
	v_pack_b32_f16 v19, v19, v45
	;; [unrolled: 1-line block ×9, first 2 shown]
	ds_store_2addr_b32 v49, v16, v19 offset1:221
	ds_store_2addr_b32 v38, v20, v23 offset0:26 offset1:247
	ds_store_2addr_b32 v39, v12, v14 offset0:20 offset1:241
	;; [unrolled: 1-line block ×3, first 2 shown]
	ds_store_b32 v49, v17 offset:7072
	s_and_saveexec_b32 s1, s0
	s_cbranch_execz .LBB0_21
; %bb.20:
	v_mul_f16_e32 v16, v64, v10
	v_mul_f16_e32 v18, v66, v30
	;; [unrolled: 1-line block ×5, first 2 shown]
	v_fma_f16 v16, v1, v37, -v16
	v_mul_f16_e32 v20, v63, v32
	v_fma_f16 v18, v6, v84, -v18
	v_fmac_f16_e32 v21, v6, v30
	v_fmac_f16_e32 v22, v1, v10
	v_mul_f16_e32 v1, v63, v86
	v_mul_f16_e32 v6, v62, v85
	;; [unrolled: 1-line block ×4, first 2 shown]
	v_fma_f16 v19, v3, v85, -v19
	v_fma_f16 v20, v4, v86, -v20
	v_fmac_f16_e32 v1, v4, v32
	v_fmac_f16_e32 v6, v3, v31
	v_mul_f16_e32 v3, v61, v83
	v_mul_f16_e32 v4, v60, v35
	;; [unrolled: 1-line block ×4, first 2 shown]
	v_fma_f16 v12, v2, v35, -v12
	v_fma_f16 v13, v5, v83, -v13
	v_fmac_f16_e32 v3, v5, v29
	v_fmac_f16_e32 v4, v2, v11
	v_mul_f16_e32 v2, v59, v82
	v_mul_f16_e32 v5, v57, v36
	v_fma_f16 v14, v0, v36, -v14
	v_fma_f16 v15, v7, v82, -v15
	v_sub_f16_e32 v23, v19, v20
	v_fmac_f16_e32 v2, v7, v81
	v_fmac_f16_e32 v5, v0, v9
	v_sub_f16_e32 v10, v16, v18
	v_add_f16_e32 v24, v21, v22
	v_mul_f16_e32 v25, 0x3be1, v23
	v_sub_f16_e32 v0, v14, v15
	v_add_f16_e32 v7, v2, v5
	v_sub_f16_e32 v9, v6, v1
	v_add_f16_e32 v16, v18, v16
	v_add_f16_e32 v14, v15, v14
	v_sub_f16_e32 v17, v12, v13
	v_fma_f16 v11, v10, 0xb924, -v25
	v_add_f16_e32 v25, v3, v4
	v_sub_f16_e32 v18, v22, v21
	v_mul_f16_e32 v21, 0x3be1, v9
	v_add_f16_e32 v12, v13, v12
	v_add_f16_e32 v13, v16, v14
	v_add_f16_e32 v15, v24, v7
	v_add_f16_e32 v27, v1, v6
	v_sub_f16_e32 v3, v4, v3
	v_fma_f16 v4, v18, 0xb924, -v21
	v_sub_f16_e32 v2, v5, v2
	v_add_f16_e32 v5, v12, v13
	v_add_f16_e32 v21, v25, v15
	v_add_f16_e32 v29, v20, v19
	v_add_f16_e32 v15, v27, v15
	v_add_f16_e32 v31, v12, v34
	v_add_f16_e32 v5, v19, v5
	v_add_f16_e32 v6, v6, v21
	v_add_f16_e32 v19, v25, v8
	v_add_f16_e32 v21, v23, v0
	v_add_f16_e32 v13, v29, v13
	v_fmac_f16_e32 v11, 0x3aee, v17
	v_fmac_f16_e32 v4, 0x3aee, v3
	v_add_f16_e32 v5, v20, v5
	v_add_f16_e32 v1, v1, v6
	v_sub_f16_e32 v6, v21, v10
	v_fmac_f16_e32 v19, -0.5, v15
	v_mul_f16_e32 v20, 0xb924, v23
	v_mul_f16_e32 v30, 0xb924, v9
	v_fmamk_f16 v26, v24, 0x3a21, v8
	v_fmamk_f16 v22, v16, 0x3a21, v34
	;; [unrolled: 1-line block ×3, first 2 shown]
	v_fmac_f16_e32 v31, -0.5, v13
	v_fmamk_f16 v13, v29, 0x3a21, v34
	v_fmac_f16_e32 v11, 0x3579, v0
	v_fmac_f16_e32 v4, 0x3579, v2
	v_add_f16_e32 v5, v34, v5
	v_add_f16_e32 v1, v8, v1
	v_mul_f16_e32 v15, 0x3aee, v6
	v_fmac_f16_e32 v19, 0xbaee, v6
	v_add_f16_e32 v6, v9, v2
	v_fmac_f16_e32 v20, 0x3be1, v0
	v_fmac_f16_e32 v30, 0x3be1, v2
	;; [unrolled: 1-line block ×3, first 2 shown]
	v_mul_f16_e32 v0, 0x3924, v0
	v_mul_f16_e32 v2, 0x3924, v2
	v_fmac_f16_e32 v34, 0x3a21, v14
	v_fmac_f16_e32 v26, 0x318f, v27
	;; [unrolled: 1-line block ×9, first 2 shown]
	v_fmac_f16_e32 v26, -0.5, v25
	v_fmac_f16_e32 v22, -0.5, v12
	v_fmac_f16_e32 v20, 0xbaee, v17
	v_fmac_f16_e32 v21, -0.5, v25
	v_fmac_f16_e32 v30, 0xbaee, v3
	v_fmac_f16_e32 v13, -0.5, v12
	v_fmac_f16_e32 v8, -0.5, v25
	v_fmac_f16_e32 v0, 0x3aee, v17
	v_fmac_f16_e32 v2, 0x3aee, v3
	v_fmac_f16_e32 v34, -0.5, v12
	v_fmac_f16_e32 v26, 0xbb84, v7
	v_fmac_f16_e32 v22, 0xbb84, v14
	v_sub_f16_e32 v6, v6, v18
	v_fmac_f16_e32 v20, 0x3579, v10
	v_fmac_f16_e32 v21, 0xbb84, v24
	;; [unrolled: 1-line block ×8, first 2 shown]
	v_sub_f16_e32 v26, v26, v11
	v_add_f16_e32 v22, v4, v22
	v_mul_f16_e32 v32, 0x3aee, v6
	v_fmac_f16_e32 v31, 0x3aee, v6
	v_sub_f16_e32 v3, v21, v20
	v_add_f16_e32 v6, v30, v13
	v_sub_f16_e32 v7, v8, v0
	v_add_f16_e32 v8, v2, v34
	v_fma_f16 v11, 2.0, v11, v26
	v_fma_f16 v4, -2.0, v4, v22
	v_fma_f16 v15, 2.0, v15, v19
	v_fma_f16 v9, -2.0, v32, v31
	;; [unrolled: 2-line block ×4, first 2 shown]
	v_pack_b32_f16 v1, v1, v5
	v_pack_b32_f16 v5, v7, v8
	v_add_nc_u32_e32 v7, 0x200, v49
	v_pack_b32_f16 v3, v3, v6
	v_pack_b32_f16 v6, v19, v31
	v_add_nc_u32_e32 v8, 0x900, v49
	;; [unrolled: 3-line block ×4, first 2 shown]
	v_pack_b32_f16 v0, v0, v2
	ds_store_2addr_b32 v7, v1, v5 offset0:25 offset1:246
	ds_store_2addr_b32 v8, v3, v6 offset0:19 offset1:240
	;; [unrolled: 1-line block ×4, first 2 shown]
	ds_store_b32 v49, v0 offset:7684
.LBB0_21:
	s_wait_alu 0xfffe
	s_or_b32 exec_lo, exec_lo, s1
	global_wb scope:SCOPE_SE
	s_wait_dscnt 0x0
	s_barrier_signal -1
	s_barrier_wait -1
	global_inv scope:SCOPE_SE
	s_and_b32 exec_lo, exec_lo, vcc_lo
	s_cbranch_execz .LBB0_23
; %bb.22:
	global_load_b32 v0, v49, s[12:13]
	ds_load_b32 v1, v49
	s_mov_b32 s8, 0x10798010
	s_mov_b32 s9, 0x3f407980
	v_mad_co_u64_u32 v[6:7], null, s4, v50, 0
	s_wait_dscnt 0x0
	v_lshrrev_b32_e32 v2, 16, v1
	s_wait_loadcnt 0x0
	v_lshrrev_b32_e32 v3, 16, v0
	s_delay_alu instid0(VALU_DEP_1) | instskip(SKIP_1) | instid1(VALU_DEP_2)
	v_mul_f16_e32 v4, v2, v3
	v_mul_f16_e32 v3, v1, v3
	v_fmac_f16_e32 v4, v1, v0
	s_delay_alu instid0(VALU_DEP_2) | instskip(NEXT) | instid1(VALU_DEP_2)
	v_fma_f16 v0, v0, v2, -v3
	v_cvt_f32_f16_e32 v1, v4
	s_delay_alu instid0(VALU_DEP_2) | instskip(SKIP_1) | instid1(VALU_DEP_3)
	v_cvt_f32_f16_e32 v2, v0
	v_mad_co_u64_u32 v[4:5], null, s6, v28, 0
	v_cvt_f64_f32_e32 v[0:1], v1
	s_delay_alu instid0(VALU_DEP_3) | instskip(SKIP_1) | instid1(VALU_DEP_2)
	v_cvt_f64_f32_e32 v[2:3], v2
	s_wait_alu 0xfffe
	v_mul_f64_e32 v[0:1], s[8:9], v[0:1]
	s_delay_alu instid0(VALU_DEP_2) | instskip(NEXT) | instid1(VALU_DEP_2)
	v_mul_f64_e32 v[2:3], s[8:9], v[2:3]
	v_and_or_b32 v0, 0x1ff, v1, v0
	s_delay_alu instid0(VALU_DEP_2)
	v_and_or_b32 v2, 0x1ff, v3, v2
	v_lshrrev_b32_e32 v8, 8, v1
	v_bfe_u32 v10, v1, 20, 11
	v_lshrrev_b32_e32 v9, 8, v3
	v_cmp_ne_u32_e32 vcc_lo, 0, v0
	v_bfe_u32 v11, v3, 20, 11
	v_mov_b32_e32 v0, v7
	v_sub_nc_u32_e32 v13, 0x3f1, v10
	v_lshrrev_b32_e32 v3, 16, v3
	v_cndmask_b32_e64 v12, 0, 1, vcc_lo
	v_cmp_ne_u32_e32 vcc_lo, 0, v2
	v_sub_nc_u32_e32 v14, 0x3f1, v11
	v_med3_i32 v13, v13, 0, 13
	s_delay_alu instid0(VALU_DEP_4)
	v_and_or_b32 v12, 0xffe, v8, v12
	s_wait_alu 0xfffd
	v_cndmask_b32_e64 v2, 0, 1, vcc_lo
	v_mad_co_u64_u32 v[7:8], null, s7, v28, v[5:6]
	v_med3_i32 v14, v14, 0, 13
	v_or_b32_e32 v15, 0x1000, v12
	s_delay_alu instid0(VALU_DEP_4) | instskip(NEXT) | instid1(VALU_DEP_4)
	v_and_or_b32 v2, 0xffe, v9, v2
	v_mov_b32_e32 v5, v7
	s_delay_alu instid0(VALU_DEP_2) | instskip(SKIP_2) | instid1(VALU_DEP_4)
	v_or_b32_e32 v16, 0x1000, v2
	v_mad_co_u64_u32 v[8:9], null, s5, v50, v[0:1]
	v_lshrrev_b32_e32 v0, v13, v15
	v_lshlrev_b64_e32 v[4:5], 2, v[4:5]
	s_delay_alu instid0(VALU_DEP_4) | instskip(SKIP_1) | instid1(VALU_DEP_3)
	v_lshrrev_b32_e32 v9, v14, v16
	s_mul_u64 s[4:5], s[4:5], 0x1d4
	v_lshlrev_b32_e32 v13, v13, v0
	s_delay_alu instid0(VALU_DEP_2) | instskip(NEXT) | instid1(VALU_DEP_2)
	v_dual_mov_b32 v7, v8 :: v_dual_lshlrev_b32 v8, v14, v9
	v_cmp_ne_u32_e32 vcc_lo, v13, v15
	s_wait_alu 0xfffd
	v_cndmask_b32_e64 v13, 0, 1, vcc_lo
	s_delay_alu instid0(VALU_DEP_3) | instskip(NEXT) | instid1(VALU_DEP_2)
	v_cmp_ne_u32_e32 vcc_lo, v8, v16
	v_or_b32_e32 v0, v0, v13
	v_add_nc_u32_e32 v11, 0xfffffc10, v11
	s_wait_alu 0xfffd
	v_cndmask_b32_e64 v8, 0, 1, vcc_lo
	s_delay_alu instid0(VALU_DEP_2) | instskip(NEXT) | instid1(VALU_DEP_2)
	v_lshl_or_b32 v13, v11, 12, v2
	v_or_b32_e32 v8, v9, v8
	v_add_nc_u32_e32 v10, 0xfffffc10, v10
	v_lshrrev_b32_e32 v9, 16, v1
	s_delay_alu instid0(VALU_DEP_2) | instskip(SKIP_2) | instid1(VALU_DEP_2)
	v_lshl_or_b32 v14, v10, 12, v12
	v_cmp_gt_i32_e32 vcc_lo, 1, v10
	s_wait_alu 0xfffd
	v_cndmask_b32_e32 v0, v14, v0, vcc_lo
	v_cmp_gt_i32_e32 vcc_lo, 1, v11
	s_wait_alu 0xfffd
	v_cndmask_b32_e32 v1, v13, v8, vcc_lo
	v_cmp_ne_u32_e32 vcc_lo, 0, v12
	v_and_b32_e32 v12, 7, v0
	v_lshrrev_b32_e32 v0, 2, v0
	s_wait_alu 0xfffd
	v_cndmask_b32_e64 v8, 0, 1, vcc_lo
	v_cmp_ne_u32_e32 vcc_lo, 0, v2
	v_cmp_eq_u32_e64 s0, 3, v12
	s_delay_alu instid0(VALU_DEP_3) | instskip(SKIP_3) | instid1(VALU_DEP_2)
	v_lshl_or_b32 v8, v8, 9, 0x7c00
	s_wait_alu 0xfffd
	v_cndmask_b32_e64 v2, 0, 1, vcc_lo
	v_cmp_lt_i32_e32 vcc_lo, 5, v12
	v_lshl_or_b32 v2, v2, 9, 0x7c00
	s_or_b32 vcc_lo, s0, vcc_lo
	s_wait_alu 0xfffe
	v_add_co_ci_u32_e32 v0, vcc_lo, 0, v0, vcc_lo
	v_and_b32_e32 v13, 7, v1
	v_lshrrev_b32_e32 v1, 2, v1
	s_delay_alu instid0(VALU_DEP_2) | instskip(SKIP_1) | instid1(VALU_DEP_1)
	v_cmp_lt_i32_e64 s1, 5, v13
	v_cmp_eq_u32_e64 s2, 3, v13
	s_or_b32 vcc_lo, s2, s1
	s_wait_alu 0xfffe
	v_add_co_ci_u32_e32 v1, vcc_lo, 0, v1, vcc_lo
	v_cmp_gt_i32_e32 vcc_lo, 31, v10
	s_wait_alu 0xfffd
	v_cndmask_b32_e32 v0, 0x7c00, v0, vcc_lo
	v_cmp_gt_i32_e32 vcc_lo, 31, v11
	s_wait_alu 0xfffd
	v_cndmask_b32_e32 v12, 0x7c00, v1, vcc_lo
	v_cmp_eq_u32_e32 vcc_lo, 0x40f, v10
	s_wait_alu 0xfffd
	v_cndmask_b32_e32 v8, v0, v8, vcc_lo
	v_cmp_eq_u32_e32 vcc_lo, 0x40f, v11
	v_lshlrev_b64_e32 v[0:1], 2, v[6:7]
	s_delay_alu instid0(VALU_DEP_3)
	v_and_or_b32 v6, 0x8000, v9, v8
	s_wait_alu 0xfffd
	v_cndmask_b32_e32 v2, v12, v2, vcc_lo
	v_add_co_u32 v4, vcc_lo, s14, v4
	s_wait_alu 0xfffd
	v_add_co_ci_u32_e32 v5, vcc_lo, s15, v5, vcc_lo
	s_delay_alu instid0(VALU_DEP_3) | instskip(SKIP_4) | instid1(VALU_DEP_3)
	v_and_or_b32 v2, 0x8000, v3, v2
	v_and_b32_e32 v3, 0xffff, v6
	v_add_co_u32 v0, vcc_lo, v4, v0
	s_wait_alu 0xfffd
	v_add_co_ci_u32_e32 v1, vcc_lo, v5, v1, vcc_lo
	v_lshl_or_b32 v2, v2, 16, v3
	global_store_b32 v[0:1], v2, off
	global_load_b32 v4, v49, s[12:13] offset:468
	ds_load_2addr_b32 v[2:3], v49 offset0:117 offset1:234
	s_wait_dscnt 0x0
	v_lshrrev_b32_e32 v5, 16, v2
	s_wait_loadcnt 0x0
	v_lshrrev_b32_e32 v6, 16, v4
	s_delay_alu instid0(VALU_DEP_1) | instskip(SKIP_1) | instid1(VALU_DEP_2)
	v_mul_f16_e32 v7, v5, v6
	v_mul_f16_e32 v6, v2, v6
	v_fmac_f16_e32 v7, v2, v4
	s_delay_alu instid0(VALU_DEP_2) | instskip(NEXT) | instid1(VALU_DEP_2)
	v_fma_f16 v2, v4, v5, -v6
	v_cvt_f32_f16_e32 v4, v7
	s_delay_alu instid0(VALU_DEP_2) | instskip(NEXT) | instid1(VALU_DEP_2)
	v_cvt_f32_f16_e32 v2, v2
	v_cvt_f64_f32_e32 v[4:5], v4
	s_delay_alu instid0(VALU_DEP_2) | instskip(NEXT) | instid1(VALU_DEP_2)
	v_cvt_f64_f32_e32 v[6:7], v2
	v_mul_f64_e32 v[4:5], s[8:9], v[4:5]
	s_delay_alu instid0(VALU_DEP_2) | instskip(NEXT) | instid1(VALU_DEP_2)
	v_mul_f64_e32 v[6:7], s[8:9], v[6:7]
	v_and_or_b32 v2, 0x1ff, v5, v4
	s_delay_alu instid0(VALU_DEP_2)
	v_and_or_b32 v6, 0x1ff, v7, v6
	v_lshrrev_b32_e32 v4, 8, v5
	v_bfe_u32 v8, v5, 20, 11
	v_lshrrev_b32_e32 v9, 8, v7
	v_cmp_ne_u32_e32 vcc_lo, 0, v2
	v_bfe_u32 v10, v7, 20, 11
	v_lshrrev_b32_e32 v5, 16, v5
	v_sub_nc_u32_e32 v11, 0x3f1, v8
	v_add_nc_u32_e32 v8, 0xfffffc10, v8
	s_wait_alu 0xfffd
	v_cndmask_b32_e64 v2, 0, 1, vcc_lo
	v_cmp_ne_u32_e32 vcc_lo, 0, v6
	v_lshrrev_b32_e32 v7, 16, v7
	s_delay_alu instid0(VALU_DEP_3) | instskip(SKIP_4) | instid1(VALU_DEP_3)
	v_and_or_b32 v2, 0xffe, v4, v2
	s_wait_alu 0xfffd
	v_cndmask_b32_e64 v6, 0, 1, vcc_lo
	v_sub_nc_u32_e32 v4, 0x3f1, v10
	v_add_nc_u32_e32 v10, 0xfffffc10, v10
	v_and_or_b32 v6, 0xffe, v9, v6
	v_med3_i32 v9, v11, 0, 13
	v_or_b32_e32 v11, 0x1000, v2
	v_med3_i32 v4, v4, 0, 13
	s_delay_alu instid0(VALU_DEP_4) | instskip(NEXT) | instid1(VALU_DEP_3)
	v_or_b32_e32 v12, 0x1000, v6
	v_lshrrev_b32_e32 v13, v9, v11
	s_delay_alu instid0(VALU_DEP_2) | instskip(NEXT) | instid1(VALU_DEP_2)
	v_lshrrev_b32_e32 v14, v4, v12
	v_lshlrev_b32_e32 v9, v9, v13
	s_delay_alu instid0(VALU_DEP_2) | instskip(NEXT) | instid1(VALU_DEP_2)
	v_lshlrev_b32_e32 v4, v4, v14
	v_cmp_ne_u32_e32 vcc_lo, v9, v11
	v_lshl_or_b32 v11, v8, 12, v2
	s_wait_alu 0xfffd
	v_cndmask_b32_e64 v9, 0, 1, vcc_lo
	v_cmp_ne_u32_e32 vcc_lo, v4, v12
	v_lshl_or_b32 v12, v10, 12, v6
	s_delay_alu instid0(VALU_DEP_3) | instskip(SKIP_3) | instid1(VALU_DEP_2)
	v_or_b32_e32 v9, v13, v9
	s_wait_alu 0xfffd
	v_cndmask_b32_e64 v4, 0, 1, vcc_lo
	v_cmp_gt_i32_e32 vcc_lo, 1, v8
	v_or_b32_e32 v4, v14, v4
	s_wait_alu 0xfffd
	v_cndmask_b32_e32 v9, v11, v9, vcc_lo
	v_cmp_gt_i32_e32 vcc_lo, 1, v10
	s_wait_alu 0xfffd
	s_delay_alu instid0(VALU_DEP_2) | instskip(SKIP_2) | instid1(VALU_DEP_3)
	v_dual_cndmask_b32 v4, v12, v4 :: v_dual_and_b32 v11, 7, v9
	v_cmp_ne_u32_e32 vcc_lo, 0, v2
	v_lshrrev_b32_e32 v9, 2, v9
	v_cmp_eq_u32_e64 s0, 3, v11
	s_delay_alu instid0(VALU_DEP_4)
	v_and_b32_e32 v12, 7, v4
	s_wait_alu 0xfffd
	v_cndmask_b32_e64 v2, 0, 1, vcc_lo
	v_cmp_ne_u32_e32 vcc_lo, 0, v6
	v_lshrrev_b32_e32 v4, 2, v4
	v_cmp_lt_i32_e64 s1, 5, v12
	v_cmp_eq_u32_e64 s2, 3, v12
	s_wait_alu 0xfffd
	v_cndmask_b32_e64 v6, 0, 1, vcc_lo
	v_cmp_lt_i32_e32 vcc_lo, 5, v11
	v_lshl_or_b32 v2, v2, 9, 0x7c00
	s_delay_alu instid0(VALU_DEP_3)
	v_lshl_or_b32 v6, v6, 9, 0x7c00
	s_or_b32 vcc_lo, s0, vcc_lo
	s_wait_alu 0xfffe
	v_add_co_ci_u32_e32 v9, vcc_lo, 0, v9, vcc_lo
	s_or_b32 vcc_lo, s2, s1
	s_wait_alu 0xfffe
	v_add_co_ci_u32_e32 v4, vcc_lo, 0, v4, vcc_lo
	v_cmp_gt_i32_e32 vcc_lo, 31, v8
	s_wait_alu 0xfffd
	v_cndmask_b32_e32 v9, 0x7c00, v9, vcc_lo
	v_cmp_gt_i32_e32 vcc_lo, 31, v10
	s_wait_alu 0xfffd
	v_cndmask_b32_e32 v4, 0x7c00, v4, vcc_lo
	v_cmp_eq_u32_e32 vcc_lo, 0x40f, v8
	s_wait_alu 0xfffd
	v_cndmask_b32_e32 v2, v9, v2, vcc_lo
	v_cmp_eq_u32_e32 vcc_lo, 0x40f, v10
	s_delay_alu instid0(VALU_DEP_2)
	v_and_or_b32 v2, 0x8000, v5, v2
	s_wait_alu 0xfffd
	v_cndmask_b32_e32 v4, v4, v6, vcc_lo
	v_add_co_u32 v0, vcc_lo, v0, s4
	s_wait_alu 0xfffd
	v_add_co_ci_u32_e32 v1, vcc_lo, s5, v1, vcc_lo
	s_delay_alu instid0(VALU_DEP_3) | instskip(SKIP_1) | instid1(VALU_DEP_1)
	v_and_or_b32 v4, 0x8000, v7, v4
	v_and_b32_e32 v2, 0xffff, v2
	v_lshl_or_b32 v2, v4, 16, v2
	v_lshrrev_b32_e32 v4, 16, v3
	global_store_b32 v[0:1], v2, off
	global_load_b32 v2, v49, s[12:13] offset:936
	s_wait_loadcnt 0x0
	v_lshrrev_b32_e32 v5, 16, v2
	s_delay_alu instid0(VALU_DEP_1) | instskip(SKIP_1) | instid1(VALU_DEP_2)
	v_mul_f16_e32 v6, v4, v5
	v_mul_f16_e32 v5, v3, v5
	v_fmac_f16_e32 v6, v3, v2
	s_delay_alu instid0(VALU_DEP_2) | instskip(NEXT) | instid1(VALU_DEP_2)
	v_fma_f16 v2, v2, v4, -v5
	v_cvt_f32_f16_e32 v3, v6
	s_delay_alu instid0(VALU_DEP_2) | instskip(NEXT) | instid1(VALU_DEP_2)
	v_cvt_f32_f16_e32 v4, v2
	v_cvt_f64_f32_e32 v[2:3], v3
	s_delay_alu instid0(VALU_DEP_2) | instskip(NEXT) | instid1(VALU_DEP_2)
	v_cvt_f64_f32_e32 v[4:5], v4
	v_mul_f64_e32 v[2:3], s[8:9], v[2:3]
	s_delay_alu instid0(VALU_DEP_2) | instskip(NEXT) | instid1(VALU_DEP_2)
	v_mul_f64_e32 v[4:5], s[8:9], v[4:5]
	v_and_or_b32 v2, 0x1ff, v3, v2
	s_delay_alu instid0(VALU_DEP_2)
	v_and_or_b32 v4, 0x1ff, v5, v4
	v_lshrrev_b32_e32 v6, 8, v3
	v_bfe_u32 v7, v3, 20, 11
	v_lshrrev_b32_e32 v8, 8, v5
	v_cmp_ne_u32_e32 vcc_lo, 0, v2
	v_bfe_u32 v9, v5, 20, 11
	v_lshrrev_b32_e32 v3, 16, v3
	v_sub_nc_u32_e32 v10, 0x3f1, v7
	v_add_nc_u32_e32 v7, 0xfffffc10, v7
	s_wait_alu 0xfffd
	v_cndmask_b32_e64 v2, 0, 1, vcc_lo
	v_cmp_ne_u32_e32 vcc_lo, 0, v4
	v_lshrrev_b32_e32 v5, 16, v5
	s_delay_alu instid0(VALU_DEP_3) | instskip(SKIP_4) | instid1(VALU_DEP_3)
	v_and_or_b32 v2, 0xffe, v6, v2
	s_wait_alu 0xfffd
	v_cndmask_b32_e64 v4, 0, 1, vcc_lo
	v_sub_nc_u32_e32 v6, 0x3f1, v9
	v_add_nc_u32_e32 v9, 0xfffffc10, v9
	v_and_or_b32 v4, 0xffe, v8, v4
	v_med3_i32 v8, v10, 0, 13
	v_or_b32_e32 v10, 0x1000, v2
	v_med3_i32 v6, v6, 0, 13
	s_delay_alu instid0(VALU_DEP_4) | instskip(NEXT) | instid1(VALU_DEP_3)
	v_or_b32_e32 v11, 0x1000, v4
	v_lshrrev_b32_e32 v12, v8, v10
	s_delay_alu instid0(VALU_DEP_2) | instskip(NEXT) | instid1(VALU_DEP_2)
	v_lshrrev_b32_e32 v13, v6, v11
	v_lshlrev_b32_e32 v8, v8, v12
	s_delay_alu instid0(VALU_DEP_2) | instskip(NEXT) | instid1(VALU_DEP_2)
	v_lshlrev_b32_e32 v6, v6, v13
	v_cmp_ne_u32_e32 vcc_lo, v8, v10
	v_lshl_or_b32 v10, v7, 12, v2
	s_wait_alu 0xfffd
	v_cndmask_b32_e64 v8, 0, 1, vcc_lo
	v_cmp_ne_u32_e32 vcc_lo, v6, v11
	v_lshl_or_b32 v11, v9, 12, v4
	s_delay_alu instid0(VALU_DEP_3) | instskip(SKIP_3) | instid1(VALU_DEP_2)
	v_or_b32_e32 v8, v12, v8
	s_wait_alu 0xfffd
	v_cndmask_b32_e64 v6, 0, 1, vcc_lo
	v_cmp_gt_i32_e32 vcc_lo, 1, v7
	v_or_b32_e32 v6, v13, v6
	s_wait_alu 0xfffd
	v_cndmask_b32_e32 v8, v10, v8, vcc_lo
	v_cmp_gt_i32_e32 vcc_lo, 1, v9
	s_delay_alu instid0(VALU_DEP_2)
	v_and_b32_e32 v10, 7, v8
	s_wait_alu 0xfffd
	v_cndmask_b32_e32 v6, v11, v6, vcc_lo
	v_cmp_ne_u32_e32 vcc_lo, 0, v2
	v_lshrrev_b32_e32 v8, 2, v8
	v_cmp_eq_u32_e64 s0, 3, v10
	s_delay_alu instid0(VALU_DEP_4)
	v_and_b32_e32 v11, 7, v6
	s_wait_alu 0xfffd
	v_cndmask_b32_e64 v2, 0, 1, vcc_lo
	v_cmp_ne_u32_e32 vcc_lo, 0, v4
	v_lshrrev_b32_e32 v6, 2, v6
	v_cmp_lt_i32_e64 s1, 5, v11
	v_cmp_eq_u32_e64 s2, 3, v11
	s_wait_alu 0xfffd
	v_cndmask_b32_e64 v4, 0, 1, vcc_lo
	v_cmp_lt_i32_e32 vcc_lo, 5, v10
	v_lshl_or_b32 v2, v2, 9, 0x7c00
	s_delay_alu instid0(VALU_DEP_3)
	v_lshl_or_b32 v4, v4, 9, 0x7c00
	s_or_b32 vcc_lo, s0, vcc_lo
	s_wait_alu 0xfffe
	v_add_co_ci_u32_e32 v8, vcc_lo, 0, v8, vcc_lo
	s_or_b32 vcc_lo, s2, s1
	s_wait_alu 0xfffe
	v_add_co_ci_u32_e32 v6, vcc_lo, 0, v6, vcc_lo
	v_cmp_gt_i32_e32 vcc_lo, 31, v7
	s_wait_alu 0xfffd
	v_cndmask_b32_e32 v8, 0x7c00, v8, vcc_lo
	v_cmp_gt_i32_e32 vcc_lo, 31, v9
	s_wait_alu 0xfffd
	v_cndmask_b32_e32 v6, 0x7c00, v6, vcc_lo
	v_cmp_eq_u32_e32 vcc_lo, 0x40f, v7
	s_wait_alu 0xfffd
	v_cndmask_b32_e32 v2, v8, v2, vcc_lo
	v_cmp_eq_u32_e32 vcc_lo, 0x40f, v9
	s_delay_alu instid0(VALU_DEP_2)
	v_and_or_b32 v2, 0x8000, v3, v2
	s_wait_alu 0xfffd
	v_cndmask_b32_e32 v4, v6, v4, vcc_lo
	v_add_co_u32 v0, vcc_lo, v0, s4
	s_wait_alu 0xfffd
	v_add_co_ci_u32_e32 v1, vcc_lo, s5, v1, vcc_lo
	s_delay_alu instid0(VALU_DEP_3) | instskip(SKIP_1) | instid1(VALU_DEP_1)
	v_and_or_b32 v3, 0x8000, v5, v4
	v_and_b32_e32 v2, 0xffff, v2
	v_lshl_or_b32 v2, v3, 16, v2
	global_store_b32 v[0:1], v2, off
	global_load_b32 v4, v49, s[12:13] offset:1404
	v_add_nc_u32_e32 v2, 0x400, v49
	ds_load_2addr_b32 v[2:3], v2 offset0:95 offset1:212
	s_wait_dscnt 0x0
	v_lshrrev_b32_e32 v5, 16, v2
	s_wait_loadcnt 0x0
	v_lshrrev_b32_e32 v6, 16, v4
	s_delay_alu instid0(VALU_DEP_1) | instskip(SKIP_1) | instid1(VALU_DEP_2)
	v_mul_f16_e32 v7, v5, v6
	v_mul_f16_e32 v6, v2, v6
	v_fmac_f16_e32 v7, v2, v4
	s_delay_alu instid0(VALU_DEP_2) | instskip(NEXT) | instid1(VALU_DEP_2)
	v_fma_f16 v2, v4, v5, -v6
	v_cvt_f32_f16_e32 v4, v7
	s_delay_alu instid0(VALU_DEP_2) | instskip(NEXT) | instid1(VALU_DEP_2)
	v_cvt_f32_f16_e32 v2, v2
	v_cvt_f64_f32_e32 v[4:5], v4
	s_delay_alu instid0(VALU_DEP_2) | instskip(NEXT) | instid1(VALU_DEP_2)
	v_cvt_f64_f32_e32 v[6:7], v2
	v_mul_f64_e32 v[4:5], s[8:9], v[4:5]
	s_delay_alu instid0(VALU_DEP_2) | instskip(NEXT) | instid1(VALU_DEP_2)
	v_mul_f64_e32 v[6:7], s[8:9], v[6:7]
	v_and_or_b32 v2, 0x1ff, v5, v4
	s_delay_alu instid0(VALU_DEP_2)
	v_and_or_b32 v6, 0x1ff, v7, v6
	v_lshrrev_b32_e32 v4, 8, v5
	v_bfe_u32 v8, v5, 20, 11
	v_lshrrev_b32_e32 v9, 8, v7
	v_cmp_ne_u32_e32 vcc_lo, 0, v2
	v_bfe_u32 v10, v7, 20, 11
	v_lshrrev_b32_e32 v5, 16, v5
	v_sub_nc_u32_e32 v11, 0x3f1, v8
	v_add_nc_u32_e32 v8, 0xfffffc10, v8
	s_wait_alu 0xfffd
	v_cndmask_b32_e64 v2, 0, 1, vcc_lo
	v_cmp_ne_u32_e32 vcc_lo, 0, v6
	v_lshrrev_b32_e32 v7, 16, v7
	s_delay_alu instid0(VALU_DEP_3) | instskip(SKIP_4) | instid1(VALU_DEP_3)
	v_and_or_b32 v2, 0xffe, v4, v2
	s_wait_alu 0xfffd
	v_cndmask_b32_e64 v6, 0, 1, vcc_lo
	v_sub_nc_u32_e32 v4, 0x3f1, v10
	v_add_nc_u32_e32 v10, 0xfffffc10, v10
	v_and_or_b32 v6, 0xffe, v9, v6
	v_med3_i32 v9, v11, 0, 13
	v_or_b32_e32 v11, 0x1000, v2
	v_med3_i32 v4, v4, 0, 13
	s_delay_alu instid0(VALU_DEP_4) | instskip(NEXT) | instid1(VALU_DEP_3)
	v_or_b32_e32 v12, 0x1000, v6
	v_lshrrev_b32_e32 v13, v9, v11
	s_delay_alu instid0(VALU_DEP_2) | instskip(NEXT) | instid1(VALU_DEP_2)
	v_lshrrev_b32_e32 v14, v4, v12
	v_lshlrev_b32_e32 v9, v9, v13
	s_delay_alu instid0(VALU_DEP_2) | instskip(NEXT) | instid1(VALU_DEP_2)
	v_lshlrev_b32_e32 v4, v4, v14
	v_cmp_ne_u32_e32 vcc_lo, v9, v11
	v_lshl_or_b32 v11, v8, 12, v2
	s_wait_alu 0xfffd
	v_cndmask_b32_e64 v9, 0, 1, vcc_lo
	v_cmp_ne_u32_e32 vcc_lo, v4, v12
	v_lshl_or_b32 v12, v10, 12, v6
	s_delay_alu instid0(VALU_DEP_3) | instskip(SKIP_3) | instid1(VALU_DEP_2)
	v_or_b32_e32 v9, v13, v9
	s_wait_alu 0xfffd
	v_cndmask_b32_e64 v4, 0, 1, vcc_lo
	v_cmp_gt_i32_e32 vcc_lo, 1, v8
	v_or_b32_e32 v4, v14, v4
	s_wait_alu 0xfffd
	v_cndmask_b32_e32 v9, v11, v9, vcc_lo
	v_cmp_gt_i32_e32 vcc_lo, 1, v10
	s_wait_alu 0xfffd
	s_delay_alu instid0(VALU_DEP_2) | instskip(SKIP_2) | instid1(VALU_DEP_3)
	v_dual_cndmask_b32 v4, v12, v4 :: v_dual_and_b32 v11, 7, v9
	v_cmp_ne_u32_e32 vcc_lo, 0, v2
	v_lshrrev_b32_e32 v9, 2, v9
	v_cmp_eq_u32_e64 s0, 3, v11
	s_delay_alu instid0(VALU_DEP_4)
	v_and_b32_e32 v12, 7, v4
	s_wait_alu 0xfffd
	v_cndmask_b32_e64 v2, 0, 1, vcc_lo
	v_cmp_ne_u32_e32 vcc_lo, 0, v6
	v_lshrrev_b32_e32 v4, 2, v4
	v_cmp_lt_i32_e64 s1, 5, v12
	v_cmp_eq_u32_e64 s2, 3, v12
	s_wait_alu 0xfffd
	v_cndmask_b32_e64 v6, 0, 1, vcc_lo
	v_cmp_lt_i32_e32 vcc_lo, 5, v11
	v_lshl_or_b32 v2, v2, 9, 0x7c00
	s_delay_alu instid0(VALU_DEP_3)
	v_lshl_or_b32 v6, v6, 9, 0x7c00
	s_or_b32 vcc_lo, s0, vcc_lo
	s_wait_alu 0xfffe
	v_add_co_ci_u32_e32 v9, vcc_lo, 0, v9, vcc_lo
	s_or_b32 vcc_lo, s2, s1
	s_wait_alu 0xfffe
	v_add_co_ci_u32_e32 v4, vcc_lo, 0, v4, vcc_lo
	v_cmp_gt_i32_e32 vcc_lo, 31, v8
	s_wait_alu 0xfffd
	v_cndmask_b32_e32 v9, 0x7c00, v9, vcc_lo
	v_cmp_gt_i32_e32 vcc_lo, 31, v10
	s_wait_alu 0xfffd
	v_cndmask_b32_e32 v4, 0x7c00, v4, vcc_lo
	v_cmp_eq_u32_e32 vcc_lo, 0x40f, v8
	s_wait_alu 0xfffd
	v_cndmask_b32_e32 v2, v9, v2, vcc_lo
	v_cmp_eq_u32_e32 vcc_lo, 0x40f, v10
	s_delay_alu instid0(VALU_DEP_2)
	v_and_or_b32 v2, 0x8000, v5, v2
	s_wait_alu 0xfffd
	v_cndmask_b32_e32 v4, v4, v6, vcc_lo
	v_add_co_u32 v0, vcc_lo, v0, s4
	s_wait_alu 0xfffd
	v_add_co_ci_u32_e32 v1, vcc_lo, s5, v1, vcc_lo
	s_delay_alu instid0(VALU_DEP_3) | instskip(SKIP_1) | instid1(VALU_DEP_1)
	v_and_or_b32 v4, 0x8000, v7, v4
	v_and_b32_e32 v2, 0xffff, v2
	v_lshl_or_b32 v2, v4, 16, v2
	v_lshrrev_b32_e32 v4, 16, v3
	global_store_b32 v[0:1], v2, off
	global_load_b32 v2, v49, s[12:13] offset:1872
	s_wait_loadcnt 0x0
	v_lshrrev_b32_e32 v5, 16, v2
	s_delay_alu instid0(VALU_DEP_1) | instskip(SKIP_1) | instid1(VALU_DEP_2)
	v_mul_f16_e32 v6, v4, v5
	v_mul_f16_e32 v5, v3, v5
	v_fmac_f16_e32 v6, v3, v2
	s_delay_alu instid0(VALU_DEP_2) | instskip(NEXT) | instid1(VALU_DEP_2)
	v_fma_f16 v2, v2, v4, -v5
	v_cvt_f32_f16_e32 v3, v6
	s_delay_alu instid0(VALU_DEP_2) | instskip(NEXT) | instid1(VALU_DEP_2)
	v_cvt_f32_f16_e32 v4, v2
	v_cvt_f64_f32_e32 v[2:3], v3
	s_delay_alu instid0(VALU_DEP_2) | instskip(NEXT) | instid1(VALU_DEP_2)
	v_cvt_f64_f32_e32 v[4:5], v4
	v_mul_f64_e32 v[2:3], s[8:9], v[2:3]
	s_delay_alu instid0(VALU_DEP_2) | instskip(NEXT) | instid1(VALU_DEP_2)
	v_mul_f64_e32 v[4:5], s[8:9], v[4:5]
	v_and_or_b32 v2, 0x1ff, v3, v2
	s_delay_alu instid0(VALU_DEP_2)
	v_and_or_b32 v4, 0x1ff, v5, v4
	v_lshrrev_b32_e32 v6, 8, v3
	v_bfe_u32 v7, v3, 20, 11
	v_lshrrev_b32_e32 v8, 8, v5
	v_cmp_ne_u32_e32 vcc_lo, 0, v2
	v_bfe_u32 v9, v5, 20, 11
	v_lshrrev_b32_e32 v3, 16, v3
	v_sub_nc_u32_e32 v10, 0x3f1, v7
	v_add_nc_u32_e32 v7, 0xfffffc10, v7
	s_wait_alu 0xfffd
	v_cndmask_b32_e64 v2, 0, 1, vcc_lo
	v_cmp_ne_u32_e32 vcc_lo, 0, v4
	v_lshrrev_b32_e32 v5, 16, v5
	s_delay_alu instid0(VALU_DEP_3) | instskip(SKIP_4) | instid1(VALU_DEP_3)
	v_and_or_b32 v2, 0xffe, v6, v2
	s_wait_alu 0xfffd
	v_cndmask_b32_e64 v4, 0, 1, vcc_lo
	v_sub_nc_u32_e32 v6, 0x3f1, v9
	v_add_nc_u32_e32 v9, 0xfffffc10, v9
	v_and_or_b32 v4, 0xffe, v8, v4
	v_med3_i32 v8, v10, 0, 13
	v_or_b32_e32 v10, 0x1000, v2
	v_med3_i32 v6, v6, 0, 13
	s_delay_alu instid0(VALU_DEP_4) | instskip(NEXT) | instid1(VALU_DEP_3)
	v_or_b32_e32 v11, 0x1000, v4
	v_lshrrev_b32_e32 v12, v8, v10
	s_delay_alu instid0(VALU_DEP_2) | instskip(NEXT) | instid1(VALU_DEP_2)
	v_lshrrev_b32_e32 v13, v6, v11
	v_lshlrev_b32_e32 v8, v8, v12
	s_delay_alu instid0(VALU_DEP_2) | instskip(NEXT) | instid1(VALU_DEP_2)
	v_lshlrev_b32_e32 v6, v6, v13
	v_cmp_ne_u32_e32 vcc_lo, v8, v10
	v_lshl_or_b32 v10, v7, 12, v2
	s_wait_alu 0xfffd
	v_cndmask_b32_e64 v8, 0, 1, vcc_lo
	v_cmp_ne_u32_e32 vcc_lo, v6, v11
	v_lshl_or_b32 v11, v9, 12, v4
	s_delay_alu instid0(VALU_DEP_3) | instskip(SKIP_3) | instid1(VALU_DEP_2)
	v_or_b32_e32 v8, v12, v8
	s_wait_alu 0xfffd
	v_cndmask_b32_e64 v6, 0, 1, vcc_lo
	v_cmp_gt_i32_e32 vcc_lo, 1, v7
	v_or_b32_e32 v6, v13, v6
	s_wait_alu 0xfffd
	v_cndmask_b32_e32 v8, v10, v8, vcc_lo
	v_cmp_gt_i32_e32 vcc_lo, 1, v9
	s_delay_alu instid0(VALU_DEP_2)
	v_and_b32_e32 v10, 7, v8
	s_wait_alu 0xfffd
	v_cndmask_b32_e32 v6, v11, v6, vcc_lo
	v_cmp_ne_u32_e32 vcc_lo, 0, v2
	v_lshrrev_b32_e32 v8, 2, v8
	v_cmp_eq_u32_e64 s0, 3, v10
	s_delay_alu instid0(VALU_DEP_4)
	v_and_b32_e32 v11, 7, v6
	s_wait_alu 0xfffd
	v_cndmask_b32_e64 v2, 0, 1, vcc_lo
	v_cmp_ne_u32_e32 vcc_lo, 0, v4
	v_lshrrev_b32_e32 v6, 2, v6
	v_cmp_lt_i32_e64 s1, 5, v11
	v_cmp_eq_u32_e64 s2, 3, v11
	s_wait_alu 0xfffd
	v_cndmask_b32_e64 v4, 0, 1, vcc_lo
	v_cmp_lt_i32_e32 vcc_lo, 5, v10
	v_lshl_or_b32 v2, v2, 9, 0x7c00
	s_delay_alu instid0(VALU_DEP_3)
	v_lshl_or_b32 v4, v4, 9, 0x7c00
	s_or_b32 vcc_lo, s0, vcc_lo
	s_wait_alu 0xfffe
	v_add_co_ci_u32_e32 v8, vcc_lo, 0, v8, vcc_lo
	s_or_b32 vcc_lo, s2, s1
	s_wait_alu 0xfffe
	v_add_co_ci_u32_e32 v6, vcc_lo, 0, v6, vcc_lo
	v_cmp_gt_i32_e32 vcc_lo, 31, v7
	s_wait_alu 0xfffd
	v_cndmask_b32_e32 v8, 0x7c00, v8, vcc_lo
	v_cmp_gt_i32_e32 vcc_lo, 31, v9
	s_wait_alu 0xfffd
	v_cndmask_b32_e32 v6, 0x7c00, v6, vcc_lo
	v_cmp_eq_u32_e32 vcc_lo, 0x40f, v7
	s_wait_alu 0xfffd
	v_cndmask_b32_e32 v2, v8, v2, vcc_lo
	v_cmp_eq_u32_e32 vcc_lo, 0x40f, v9
	s_delay_alu instid0(VALU_DEP_2)
	v_and_or_b32 v2, 0x8000, v3, v2
	s_wait_alu 0xfffd
	v_cndmask_b32_e32 v4, v6, v4, vcc_lo
	v_add_co_u32 v0, vcc_lo, v0, s4
	s_wait_alu 0xfffd
	v_add_co_ci_u32_e32 v1, vcc_lo, s5, v1, vcc_lo
	s_delay_alu instid0(VALU_DEP_3) | instskip(SKIP_1) | instid1(VALU_DEP_1)
	v_and_or_b32 v3, 0x8000, v5, v4
	v_and_b32_e32 v2, 0xffff, v2
	v_lshl_or_b32 v2, v3, 16, v2
	global_store_b32 v[0:1], v2, off
	global_load_b32 v4, v49, s[12:13] offset:2340
	v_add_nc_u32_e32 v2, 0x800, v49
	ds_load_2addr_b32 v[2:3], v2 offset0:73 offset1:190
	s_wait_dscnt 0x0
	v_lshrrev_b32_e32 v5, 16, v2
	s_wait_loadcnt 0x0
	v_lshrrev_b32_e32 v6, 16, v4
	s_delay_alu instid0(VALU_DEP_1) | instskip(SKIP_1) | instid1(VALU_DEP_2)
	v_mul_f16_e32 v7, v5, v6
	v_mul_f16_e32 v6, v2, v6
	v_fmac_f16_e32 v7, v2, v4
	s_delay_alu instid0(VALU_DEP_2) | instskip(NEXT) | instid1(VALU_DEP_2)
	v_fma_f16 v2, v4, v5, -v6
	v_cvt_f32_f16_e32 v4, v7
	s_delay_alu instid0(VALU_DEP_2) | instskip(NEXT) | instid1(VALU_DEP_2)
	v_cvt_f32_f16_e32 v2, v2
	v_cvt_f64_f32_e32 v[4:5], v4
	s_delay_alu instid0(VALU_DEP_2) | instskip(NEXT) | instid1(VALU_DEP_2)
	v_cvt_f64_f32_e32 v[6:7], v2
	v_mul_f64_e32 v[4:5], s[8:9], v[4:5]
	s_delay_alu instid0(VALU_DEP_2) | instskip(NEXT) | instid1(VALU_DEP_2)
	v_mul_f64_e32 v[6:7], s[8:9], v[6:7]
	v_and_or_b32 v2, 0x1ff, v5, v4
	s_delay_alu instid0(VALU_DEP_2)
	v_and_or_b32 v6, 0x1ff, v7, v6
	v_lshrrev_b32_e32 v4, 8, v5
	v_bfe_u32 v8, v5, 20, 11
	v_lshrrev_b32_e32 v9, 8, v7
	v_cmp_ne_u32_e32 vcc_lo, 0, v2
	v_bfe_u32 v10, v7, 20, 11
	v_lshrrev_b32_e32 v5, 16, v5
	v_sub_nc_u32_e32 v11, 0x3f1, v8
	v_add_nc_u32_e32 v8, 0xfffffc10, v8
	s_wait_alu 0xfffd
	v_cndmask_b32_e64 v2, 0, 1, vcc_lo
	v_cmp_ne_u32_e32 vcc_lo, 0, v6
	v_lshrrev_b32_e32 v7, 16, v7
	s_delay_alu instid0(VALU_DEP_3) | instskip(SKIP_4) | instid1(VALU_DEP_3)
	v_and_or_b32 v2, 0xffe, v4, v2
	s_wait_alu 0xfffd
	v_cndmask_b32_e64 v6, 0, 1, vcc_lo
	v_sub_nc_u32_e32 v4, 0x3f1, v10
	v_add_nc_u32_e32 v10, 0xfffffc10, v10
	v_and_or_b32 v6, 0xffe, v9, v6
	v_med3_i32 v9, v11, 0, 13
	v_or_b32_e32 v11, 0x1000, v2
	v_med3_i32 v4, v4, 0, 13
	s_delay_alu instid0(VALU_DEP_4) | instskip(NEXT) | instid1(VALU_DEP_3)
	v_or_b32_e32 v12, 0x1000, v6
	v_lshrrev_b32_e32 v13, v9, v11
	s_delay_alu instid0(VALU_DEP_2) | instskip(NEXT) | instid1(VALU_DEP_2)
	v_lshrrev_b32_e32 v14, v4, v12
	v_lshlrev_b32_e32 v9, v9, v13
	s_delay_alu instid0(VALU_DEP_2) | instskip(NEXT) | instid1(VALU_DEP_2)
	v_lshlrev_b32_e32 v4, v4, v14
	v_cmp_ne_u32_e32 vcc_lo, v9, v11
	v_lshl_or_b32 v11, v8, 12, v2
	s_wait_alu 0xfffd
	v_cndmask_b32_e64 v9, 0, 1, vcc_lo
	v_cmp_ne_u32_e32 vcc_lo, v4, v12
	v_lshl_or_b32 v12, v10, 12, v6
	s_delay_alu instid0(VALU_DEP_3) | instskip(SKIP_3) | instid1(VALU_DEP_2)
	v_or_b32_e32 v9, v13, v9
	s_wait_alu 0xfffd
	v_cndmask_b32_e64 v4, 0, 1, vcc_lo
	v_cmp_gt_i32_e32 vcc_lo, 1, v8
	v_or_b32_e32 v4, v14, v4
	s_wait_alu 0xfffd
	v_cndmask_b32_e32 v9, v11, v9, vcc_lo
	v_cmp_gt_i32_e32 vcc_lo, 1, v10
	s_wait_alu 0xfffd
	s_delay_alu instid0(VALU_DEP_2) | instskip(SKIP_2) | instid1(VALU_DEP_3)
	v_dual_cndmask_b32 v4, v12, v4 :: v_dual_and_b32 v11, 7, v9
	v_cmp_ne_u32_e32 vcc_lo, 0, v2
	v_lshrrev_b32_e32 v9, 2, v9
	v_cmp_eq_u32_e64 s0, 3, v11
	s_delay_alu instid0(VALU_DEP_4)
	v_and_b32_e32 v12, 7, v4
	s_wait_alu 0xfffd
	v_cndmask_b32_e64 v2, 0, 1, vcc_lo
	v_cmp_ne_u32_e32 vcc_lo, 0, v6
	v_lshrrev_b32_e32 v4, 2, v4
	v_cmp_lt_i32_e64 s1, 5, v12
	v_cmp_eq_u32_e64 s2, 3, v12
	s_wait_alu 0xfffd
	v_cndmask_b32_e64 v6, 0, 1, vcc_lo
	v_cmp_lt_i32_e32 vcc_lo, 5, v11
	v_lshl_or_b32 v2, v2, 9, 0x7c00
	s_delay_alu instid0(VALU_DEP_3)
	v_lshl_or_b32 v6, v6, 9, 0x7c00
	s_or_b32 vcc_lo, s0, vcc_lo
	s_wait_alu 0xfffe
	v_add_co_ci_u32_e32 v9, vcc_lo, 0, v9, vcc_lo
	s_or_b32 vcc_lo, s2, s1
	s_wait_alu 0xfffe
	v_add_co_ci_u32_e32 v4, vcc_lo, 0, v4, vcc_lo
	v_cmp_gt_i32_e32 vcc_lo, 31, v8
	s_wait_alu 0xfffd
	v_cndmask_b32_e32 v9, 0x7c00, v9, vcc_lo
	v_cmp_gt_i32_e32 vcc_lo, 31, v10
	s_wait_alu 0xfffd
	v_cndmask_b32_e32 v4, 0x7c00, v4, vcc_lo
	v_cmp_eq_u32_e32 vcc_lo, 0x40f, v8
	s_wait_alu 0xfffd
	v_cndmask_b32_e32 v2, v9, v2, vcc_lo
	v_cmp_eq_u32_e32 vcc_lo, 0x40f, v10
	s_delay_alu instid0(VALU_DEP_2)
	v_and_or_b32 v2, 0x8000, v5, v2
	s_wait_alu 0xfffd
	v_cndmask_b32_e32 v4, v4, v6, vcc_lo
	v_add_co_u32 v0, vcc_lo, v0, s4
	s_wait_alu 0xfffd
	v_add_co_ci_u32_e32 v1, vcc_lo, s5, v1, vcc_lo
	s_delay_alu instid0(VALU_DEP_3) | instskip(SKIP_1) | instid1(VALU_DEP_1)
	v_and_or_b32 v4, 0x8000, v7, v4
	v_and_b32_e32 v2, 0xffff, v2
	v_lshl_or_b32 v2, v4, 16, v2
	v_lshrrev_b32_e32 v4, 16, v3
	global_store_b32 v[0:1], v2, off
	global_load_b32 v2, v49, s[12:13] offset:2808
	s_wait_loadcnt 0x0
	v_lshrrev_b32_e32 v5, 16, v2
	s_delay_alu instid0(VALU_DEP_1) | instskip(SKIP_1) | instid1(VALU_DEP_2)
	v_mul_f16_e32 v6, v4, v5
	v_mul_f16_e32 v5, v3, v5
	v_fmac_f16_e32 v6, v3, v2
	s_delay_alu instid0(VALU_DEP_2) | instskip(NEXT) | instid1(VALU_DEP_2)
	v_fma_f16 v2, v2, v4, -v5
	v_cvt_f32_f16_e32 v3, v6
	s_delay_alu instid0(VALU_DEP_2) | instskip(NEXT) | instid1(VALU_DEP_2)
	v_cvt_f32_f16_e32 v4, v2
	v_cvt_f64_f32_e32 v[2:3], v3
	s_delay_alu instid0(VALU_DEP_2) | instskip(NEXT) | instid1(VALU_DEP_2)
	v_cvt_f64_f32_e32 v[4:5], v4
	v_mul_f64_e32 v[2:3], s[8:9], v[2:3]
	s_delay_alu instid0(VALU_DEP_2) | instskip(NEXT) | instid1(VALU_DEP_2)
	v_mul_f64_e32 v[4:5], s[8:9], v[4:5]
	v_and_or_b32 v2, 0x1ff, v3, v2
	s_delay_alu instid0(VALU_DEP_2)
	v_and_or_b32 v4, 0x1ff, v5, v4
	v_lshrrev_b32_e32 v6, 8, v3
	v_bfe_u32 v7, v3, 20, 11
	v_lshrrev_b32_e32 v8, 8, v5
	v_cmp_ne_u32_e32 vcc_lo, 0, v2
	v_bfe_u32 v9, v5, 20, 11
	v_lshrrev_b32_e32 v3, 16, v3
	v_sub_nc_u32_e32 v10, 0x3f1, v7
	v_add_nc_u32_e32 v7, 0xfffffc10, v7
	s_wait_alu 0xfffd
	v_cndmask_b32_e64 v2, 0, 1, vcc_lo
	v_cmp_ne_u32_e32 vcc_lo, 0, v4
	v_lshrrev_b32_e32 v5, 16, v5
	s_delay_alu instid0(VALU_DEP_3) | instskip(SKIP_4) | instid1(VALU_DEP_3)
	v_and_or_b32 v2, 0xffe, v6, v2
	s_wait_alu 0xfffd
	v_cndmask_b32_e64 v4, 0, 1, vcc_lo
	v_sub_nc_u32_e32 v6, 0x3f1, v9
	v_add_nc_u32_e32 v9, 0xfffffc10, v9
	v_and_or_b32 v4, 0xffe, v8, v4
	v_med3_i32 v8, v10, 0, 13
	v_or_b32_e32 v10, 0x1000, v2
	v_med3_i32 v6, v6, 0, 13
	s_delay_alu instid0(VALU_DEP_4) | instskip(NEXT) | instid1(VALU_DEP_3)
	v_or_b32_e32 v11, 0x1000, v4
	v_lshrrev_b32_e32 v12, v8, v10
	s_delay_alu instid0(VALU_DEP_2) | instskip(NEXT) | instid1(VALU_DEP_2)
	v_lshrrev_b32_e32 v13, v6, v11
	v_lshlrev_b32_e32 v8, v8, v12
	s_delay_alu instid0(VALU_DEP_2) | instskip(NEXT) | instid1(VALU_DEP_2)
	v_lshlrev_b32_e32 v6, v6, v13
	v_cmp_ne_u32_e32 vcc_lo, v8, v10
	v_lshl_or_b32 v10, v7, 12, v2
	s_wait_alu 0xfffd
	v_cndmask_b32_e64 v8, 0, 1, vcc_lo
	v_cmp_ne_u32_e32 vcc_lo, v6, v11
	v_lshl_or_b32 v11, v9, 12, v4
	s_delay_alu instid0(VALU_DEP_3) | instskip(SKIP_3) | instid1(VALU_DEP_2)
	v_or_b32_e32 v8, v12, v8
	s_wait_alu 0xfffd
	v_cndmask_b32_e64 v6, 0, 1, vcc_lo
	v_cmp_gt_i32_e32 vcc_lo, 1, v7
	v_or_b32_e32 v6, v13, v6
	s_wait_alu 0xfffd
	v_cndmask_b32_e32 v8, v10, v8, vcc_lo
	v_cmp_gt_i32_e32 vcc_lo, 1, v9
	s_delay_alu instid0(VALU_DEP_2)
	v_and_b32_e32 v10, 7, v8
	s_wait_alu 0xfffd
	v_cndmask_b32_e32 v6, v11, v6, vcc_lo
	v_cmp_ne_u32_e32 vcc_lo, 0, v2
	v_lshrrev_b32_e32 v8, 2, v8
	v_cmp_eq_u32_e64 s0, 3, v10
	s_delay_alu instid0(VALU_DEP_4)
	v_and_b32_e32 v11, 7, v6
	s_wait_alu 0xfffd
	v_cndmask_b32_e64 v2, 0, 1, vcc_lo
	v_cmp_ne_u32_e32 vcc_lo, 0, v4
	v_lshrrev_b32_e32 v6, 2, v6
	v_cmp_lt_i32_e64 s1, 5, v11
	v_cmp_eq_u32_e64 s2, 3, v11
	s_wait_alu 0xfffd
	v_cndmask_b32_e64 v4, 0, 1, vcc_lo
	v_cmp_lt_i32_e32 vcc_lo, 5, v10
	v_lshl_or_b32 v2, v2, 9, 0x7c00
	s_delay_alu instid0(VALU_DEP_3)
	v_lshl_or_b32 v4, v4, 9, 0x7c00
	s_or_b32 vcc_lo, s0, vcc_lo
	s_wait_alu 0xfffe
	v_add_co_ci_u32_e32 v8, vcc_lo, 0, v8, vcc_lo
	s_or_b32 vcc_lo, s2, s1
	s_wait_alu 0xfffe
	v_add_co_ci_u32_e32 v6, vcc_lo, 0, v6, vcc_lo
	v_cmp_gt_i32_e32 vcc_lo, 31, v7
	s_wait_alu 0xfffd
	v_cndmask_b32_e32 v8, 0x7c00, v8, vcc_lo
	v_cmp_gt_i32_e32 vcc_lo, 31, v9
	s_wait_alu 0xfffd
	v_cndmask_b32_e32 v6, 0x7c00, v6, vcc_lo
	v_cmp_eq_u32_e32 vcc_lo, 0x40f, v7
	s_wait_alu 0xfffd
	v_cndmask_b32_e32 v2, v8, v2, vcc_lo
	v_cmp_eq_u32_e32 vcc_lo, 0x40f, v9
	s_delay_alu instid0(VALU_DEP_2)
	v_and_or_b32 v2, 0x8000, v3, v2
	s_wait_alu 0xfffd
	v_cndmask_b32_e32 v4, v6, v4, vcc_lo
	v_add_co_u32 v0, vcc_lo, v0, s4
	s_wait_alu 0xfffd
	v_add_co_ci_u32_e32 v1, vcc_lo, s5, v1, vcc_lo
	s_delay_alu instid0(VALU_DEP_3) | instskip(SKIP_1) | instid1(VALU_DEP_1)
	v_and_or_b32 v3, 0x8000, v5, v4
	v_and_b32_e32 v2, 0xffff, v2
	v_lshl_or_b32 v2, v3, 16, v2
	global_store_b32 v[0:1], v2, off
	global_load_b32 v4, v49, s[12:13] offset:3276
	v_add_nc_u32_e32 v2, 0xc00, v49
	ds_load_2addr_b32 v[2:3], v2 offset0:51 offset1:168
	s_wait_dscnt 0x0
	v_lshrrev_b32_e32 v5, 16, v2
	s_wait_loadcnt 0x0
	v_lshrrev_b32_e32 v6, 16, v4
	s_delay_alu instid0(VALU_DEP_1) | instskip(SKIP_1) | instid1(VALU_DEP_2)
	v_mul_f16_e32 v7, v5, v6
	v_mul_f16_e32 v6, v2, v6
	v_fmac_f16_e32 v7, v2, v4
	s_delay_alu instid0(VALU_DEP_2) | instskip(NEXT) | instid1(VALU_DEP_2)
	v_fma_f16 v2, v4, v5, -v6
	v_cvt_f32_f16_e32 v4, v7
	s_delay_alu instid0(VALU_DEP_2) | instskip(NEXT) | instid1(VALU_DEP_2)
	v_cvt_f32_f16_e32 v2, v2
	v_cvt_f64_f32_e32 v[4:5], v4
	s_delay_alu instid0(VALU_DEP_2) | instskip(NEXT) | instid1(VALU_DEP_2)
	v_cvt_f64_f32_e32 v[6:7], v2
	v_mul_f64_e32 v[4:5], s[8:9], v[4:5]
	s_delay_alu instid0(VALU_DEP_2) | instskip(NEXT) | instid1(VALU_DEP_2)
	v_mul_f64_e32 v[6:7], s[8:9], v[6:7]
	v_and_or_b32 v2, 0x1ff, v5, v4
	s_delay_alu instid0(VALU_DEP_2)
	v_and_or_b32 v6, 0x1ff, v7, v6
	v_lshrrev_b32_e32 v4, 8, v5
	v_bfe_u32 v8, v5, 20, 11
	v_lshrrev_b32_e32 v9, 8, v7
	v_cmp_ne_u32_e32 vcc_lo, 0, v2
	v_bfe_u32 v10, v7, 20, 11
	v_lshrrev_b32_e32 v5, 16, v5
	v_sub_nc_u32_e32 v11, 0x3f1, v8
	v_add_nc_u32_e32 v8, 0xfffffc10, v8
	s_wait_alu 0xfffd
	v_cndmask_b32_e64 v2, 0, 1, vcc_lo
	v_cmp_ne_u32_e32 vcc_lo, 0, v6
	v_lshrrev_b32_e32 v7, 16, v7
	s_delay_alu instid0(VALU_DEP_3) | instskip(SKIP_4) | instid1(VALU_DEP_3)
	v_and_or_b32 v2, 0xffe, v4, v2
	s_wait_alu 0xfffd
	v_cndmask_b32_e64 v6, 0, 1, vcc_lo
	v_sub_nc_u32_e32 v4, 0x3f1, v10
	v_add_nc_u32_e32 v10, 0xfffffc10, v10
	v_and_or_b32 v6, 0xffe, v9, v6
	v_med3_i32 v9, v11, 0, 13
	v_or_b32_e32 v11, 0x1000, v2
	v_med3_i32 v4, v4, 0, 13
	s_delay_alu instid0(VALU_DEP_4) | instskip(NEXT) | instid1(VALU_DEP_3)
	v_or_b32_e32 v12, 0x1000, v6
	v_lshrrev_b32_e32 v13, v9, v11
	s_delay_alu instid0(VALU_DEP_2) | instskip(NEXT) | instid1(VALU_DEP_2)
	v_lshrrev_b32_e32 v14, v4, v12
	v_lshlrev_b32_e32 v9, v9, v13
	s_delay_alu instid0(VALU_DEP_2) | instskip(NEXT) | instid1(VALU_DEP_2)
	v_lshlrev_b32_e32 v4, v4, v14
	v_cmp_ne_u32_e32 vcc_lo, v9, v11
	v_lshl_or_b32 v11, v8, 12, v2
	s_wait_alu 0xfffd
	v_cndmask_b32_e64 v9, 0, 1, vcc_lo
	v_cmp_ne_u32_e32 vcc_lo, v4, v12
	v_lshl_or_b32 v12, v10, 12, v6
	s_delay_alu instid0(VALU_DEP_3) | instskip(SKIP_3) | instid1(VALU_DEP_2)
	v_or_b32_e32 v9, v13, v9
	s_wait_alu 0xfffd
	v_cndmask_b32_e64 v4, 0, 1, vcc_lo
	v_cmp_gt_i32_e32 vcc_lo, 1, v8
	v_or_b32_e32 v4, v14, v4
	s_wait_alu 0xfffd
	v_cndmask_b32_e32 v9, v11, v9, vcc_lo
	v_cmp_gt_i32_e32 vcc_lo, 1, v10
	s_wait_alu 0xfffd
	s_delay_alu instid0(VALU_DEP_2) | instskip(SKIP_2) | instid1(VALU_DEP_3)
	v_dual_cndmask_b32 v4, v12, v4 :: v_dual_and_b32 v11, 7, v9
	v_cmp_ne_u32_e32 vcc_lo, 0, v2
	v_lshrrev_b32_e32 v9, 2, v9
	v_cmp_eq_u32_e64 s0, 3, v11
	s_delay_alu instid0(VALU_DEP_4)
	v_and_b32_e32 v12, 7, v4
	s_wait_alu 0xfffd
	v_cndmask_b32_e64 v2, 0, 1, vcc_lo
	v_cmp_ne_u32_e32 vcc_lo, 0, v6
	v_lshrrev_b32_e32 v4, 2, v4
	v_cmp_lt_i32_e64 s1, 5, v12
	v_cmp_eq_u32_e64 s2, 3, v12
	s_wait_alu 0xfffd
	v_cndmask_b32_e64 v6, 0, 1, vcc_lo
	v_cmp_lt_i32_e32 vcc_lo, 5, v11
	v_lshl_or_b32 v2, v2, 9, 0x7c00
	s_delay_alu instid0(VALU_DEP_3)
	v_lshl_or_b32 v6, v6, 9, 0x7c00
	s_or_b32 vcc_lo, s0, vcc_lo
	s_wait_alu 0xfffe
	v_add_co_ci_u32_e32 v9, vcc_lo, 0, v9, vcc_lo
	s_or_b32 vcc_lo, s2, s1
	s_wait_alu 0xfffe
	v_add_co_ci_u32_e32 v4, vcc_lo, 0, v4, vcc_lo
	v_cmp_gt_i32_e32 vcc_lo, 31, v8
	s_wait_alu 0xfffd
	v_cndmask_b32_e32 v9, 0x7c00, v9, vcc_lo
	v_cmp_gt_i32_e32 vcc_lo, 31, v10
	s_wait_alu 0xfffd
	v_cndmask_b32_e32 v4, 0x7c00, v4, vcc_lo
	v_cmp_eq_u32_e32 vcc_lo, 0x40f, v8
	s_wait_alu 0xfffd
	v_cndmask_b32_e32 v2, v9, v2, vcc_lo
	v_cmp_eq_u32_e32 vcc_lo, 0x40f, v10
	s_delay_alu instid0(VALU_DEP_2)
	v_and_or_b32 v2, 0x8000, v5, v2
	s_wait_alu 0xfffd
	v_cndmask_b32_e32 v4, v4, v6, vcc_lo
	v_add_co_u32 v0, vcc_lo, v0, s4
	s_wait_alu 0xfffd
	v_add_co_ci_u32_e32 v1, vcc_lo, s5, v1, vcc_lo
	s_delay_alu instid0(VALU_DEP_3) | instskip(SKIP_1) | instid1(VALU_DEP_1)
	v_and_or_b32 v4, 0x8000, v7, v4
	v_and_b32_e32 v2, 0xffff, v2
	v_lshl_or_b32 v2, v4, 16, v2
	v_lshrrev_b32_e32 v4, 16, v3
	global_store_b32 v[0:1], v2, off
	global_load_b32 v2, v49, s[12:13] offset:3744
	s_wait_loadcnt 0x0
	v_lshrrev_b32_e32 v5, 16, v2
	s_delay_alu instid0(VALU_DEP_1) | instskip(SKIP_1) | instid1(VALU_DEP_2)
	v_mul_f16_e32 v6, v4, v5
	v_mul_f16_e32 v5, v3, v5
	v_fmac_f16_e32 v6, v3, v2
	s_delay_alu instid0(VALU_DEP_2) | instskip(NEXT) | instid1(VALU_DEP_2)
	v_fma_f16 v2, v2, v4, -v5
	v_cvt_f32_f16_e32 v3, v6
	s_delay_alu instid0(VALU_DEP_2) | instskip(NEXT) | instid1(VALU_DEP_2)
	v_cvt_f32_f16_e32 v4, v2
	v_cvt_f64_f32_e32 v[2:3], v3
	s_delay_alu instid0(VALU_DEP_2) | instskip(NEXT) | instid1(VALU_DEP_2)
	v_cvt_f64_f32_e32 v[4:5], v4
	v_mul_f64_e32 v[2:3], s[8:9], v[2:3]
	s_delay_alu instid0(VALU_DEP_2) | instskip(NEXT) | instid1(VALU_DEP_2)
	v_mul_f64_e32 v[4:5], s[8:9], v[4:5]
	v_and_or_b32 v2, 0x1ff, v3, v2
	s_delay_alu instid0(VALU_DEP_2)
	v_and_or_b32 v4, 0x1ff, v5, v4
	v_lshrrev_b32_e32 v6, 8, v3
	v_bfe_u32 v7, v3, 20, 11
	v_lshrrev_b32_e32 v8, 8, v5
	v_cmp_ne_u32_e32 vcc_lo, 0, v2
	v_bfe_u32 v9, v5, 20, 11
	v_lshrrev_b32_e32 v3, 16, v3
	v_sub_nc_u32_e32 v10, 0x3f1, v7
	v_add_nc_u32_e32 v7, 0xfffffc10, v7
	s_wait_alu 0xfffd
	v_cndmask_b32_e64 v2, 0, 1, vcc_lo
	v_cmp_ne_u32_e32 vcc_lo, 0, v4
	v_lshrrev_b32_e32 v5, 16, v5
	s_delay_alu instid0(VALU_DEP_3) | instskip(SKIP_4) | instid1(VALU_DEP_3)
	v_and_or_b32 v2, 0xffe, v6, v2
	s_wait_alu 0xfffd
	v_cndmask_b32_e64 v4, 0, 1, vcc_lo
	v_sub_nc_u32_e32 v6, 0x3f1, v9
	v_add_nc_u32_e32 v9, 0xfffffc10, v9
	v_and_or_b32 v4, 0xffe, v8, v4
	v_med3_i32 v8, v10, 0, 13
	v_or_b32_e32 v10, 0x1000, v2
	v_med3_i32 v6, v6, 0, 13
	s_delay_alu instid0(VALU_DEP_4) | instskip(NEXT) | instid1(VALU_DEP_3)
	v_or_b32_e32 v11, 0x1000, v4
	v_lshrrev_b32_e32 v12, v8, v10
	s_delay_alu instid0(VALU_DEP_2) | instskip(NEXT) | instid1(VALU_DEP_2)
	v_lshrrev_b32_e32 v13, v6, v11
	v_lshlrev_b32_e32 v8, v8, v12
	s_delay_alu instid0(VALU_DEP_2) | instskip(NEXT) | instid1(VALU_DEP_2)
	v_lshlrev_b32_e32 v6, v6, v13
	v_cmp_ne_u32_e32 vcc_lo, v8, v10
	v_lshl_or_b32 v10, v7, 12, v2
	s_wait_alu 0xfffd
	v_cndmask_b32_e64 v8, 0, 1, vcc_lo
	v_cmp_ne_u32_e32 vcc_lo, v6, v11
	v_lshl_or_b32 v11, v9, 12, v4
	s_delay_alu instid0(VALU_DEP_3) | instskip(SKIP_3) | instid1(VALU_DEP_2)
	v_or_b32_e32 v8, v12, v8
	s_wait_alu 0xfffd
	v_cndmask_b32_e64 v6, 0, 1, vcc_lo
	v_cmp_gt_i32_e32 vcc_lo, 1, v7
	v_or_b32_e32 v6, v13, v6
	s_wait_alu 0xfffd
	v_cndmask_b32_e32 v8, v10, v8, vcc_lo
	v_cmp_gt_i32_e32 vcc_lo, 1, v9
	s_delay_alu instid0(VALU_DEP_2)
	v_and_b32_e32 v10, 7, v8
	s_wait_alu 0xfffd
	v_cndmask_b32_e32 v6, v11, v6, vcc_lo
	v_cmp_ne_u32_e32 vcc_lo, 0, v2
	v_lshrrev_b32_e32 v8, 2, v8
	v_cmp_eq_u32_e64 s0, 3, v10
	s_delay_alu instid0(VALU_DEP_4)
	v_and_b32_e32 v11, 7, v6
	s_wait_alu 0xfffd
	v_cndmask_b32_e64 v2, 0, 1, vcc_lo
	v_cmp_ne_u32_e32 vcc_lo, 0, v4
	v_lshrrev_b32_e32 v6, 2, v6
	v_cmp_lt_i32_e64 s1, 5, v11
	v_cmp_eq_u32_e64 s2, 3, v11
	s_wait_alu 0xfffd
	v_cndmask_b32_e64 v4, 0, 1, vcc_lo
	v_cmp_lt_i32_e32 vcc_lo, 5, v10
	v_lshl_or_b32 v2, v2, 9, 0x7c00
	s_delay_alu instid0(VALU_DEP_3)
	v_lshl_or_b32 v4, v4, 9, 0x7c00
	s_or_b32 vcc_lo, s0, vcc_lo
	s_wait_alu 0xfffe
	v_add_co_ci_u32_e32 v8, vcc_lo, 0, v8, vcc_lo
	s_or_b32 vcc_lo, s2, s1
	s_wait_alu 0xfffe
	v_add_co_ci_u32_e32 v6, vcc_lo, 0, v6, vcc_lo
	v_cmp_gt_i32_e32 vcc_lo, 31, v7
	s_wait_alu 0xfffd
	v_cndmask_b32_e32 v8, 0x7c00, v8, vcc_lo
	v_cmp_gt_i32_e32 vcc_lo, 31, v9
	s_wait_alu 0xfffd
	v_cndmask_b32_e32 v6, 0x7c00, v6, vcc_lo
	v_cmp_eq_u32_e32 vcc_lo, 0x40f, v7
	s_wait_alu 0xfffd
	v_cndmask_b32_e32 v2, v8, v2, vcc_lo
	v_cmp_eq_u32_e32 vcc_lo, 0x40f, v9
	s_delay_alu instid0(VALU_DEP_2)
	v_and_or_b32 v2, 0x8000, v3, v2
	s_wait_alu 0xfffd
	v_cndmask_b32_e32 v4, v6, v4, vcc_lo
	v_add_co_u32 v0, vcc_lo, v0, s4
	s_wait_alu 0xfffd
	v_add_co_ci_u32_e32 v1, vcc_lo, s5, v1, vcc_lo
	s_delay_alu instid0(VALU_DEP_3) | instskip(SKIP_1) | instid1(VALU_DEP_1)
	v_and_or_b32 v3, 0x8000, v5, v4
	v_and_b32_e32 v2, 0xffff, v2
	v_lshl_or_b32 v2, v3, 16, v2
	global_store_b32 v[0:1], v2, off
	global_load_b32 v4, v49, s[12:13] offset:4212
	v_add_nc_u32_e32 v2, 0x1000, v49
	ds_load_2addr_b32 v[2:3], v2 offset0:29 offset1:146
	s_wait_dscnt 0x0
	v_lshrrev_b32_e32 v5, 16, v2
	s_wait_loadcnt 0x0
	v_lshrrev_b32_e32 v6, 16, v4
	s_delay_alu instid0(VALU_DEP_1) | instskip(SKIP_1) | instid1(VALU_DEP_2)
	v_mul_f16_e32 v7, v5, v6
	v_mul_f16_e32 v6, v2, v6
	v_fmac_f16_e32 v7, v2, v4
	s_delay_alu instid0(VALU_DEP_2) | instskip(NEXT) | instid1(VALU_DEP_2)
	v_fma_f16 v2, v4, v5, -v6
	v_cvt_f32_f16_e32 v4, v7
	s_delay_alu instid0(VALU_DEP_2) | instskip(NEXT) | instid1(VALU_DEP_2)
	v_cvt_f32_f16_e32 v2, v2
	v_cvt_f64_f32_e32 v[4:5], v4
	s_delay_alu instid0(VALU_DEP_2) | instskip(NEXT) | instid1(VALU_DEP_2)
	v_cvt_f64_f32_e32 v[6:7], v2
	v_mul_f64_e32 v[4:5], s[8:9], v[4:5]
	s_delay_alu instid0(VALU_DEP_2) | instskip(NEXT) | instid1(VALU_DEP_2)
	v_mul_f64_e32 v[6:7], s[8:9], v[6:7]
	v_and_or_b32 v2, 0x1ff, v5, v4
	s_delay_alu instid0(VALU_DEP_2)
	v_and_or_b32 v6, 0x1ff, v7, v6
	v_lshrrev_b32_e32 v4, 8, v5
	v_bfe_u32 v8, v5, 20, 11
	v_lshrrev_b32_e32 v9, 8, v7
	v_cmp_ne_u32_e32 vcc_lo, 0, v2
	v_bfe_u32 v10, v7, 20, 11
	v_lshrrev_b32_e32 v5, 16, v5
	v_sub_nc_u32_e32 v11, 0x3f1, v8
	v_add_nc_u32_e32 v8, 0xfffffc10, v8
	s_wait_alu 0xfffd
	v_cndmask_b32_e64 v2, 0, 1, vcc_lo
	v_cmp_ne_u32_e32 vcc_lo, 0, v6
	v_lshrrev_b32_e32 v7, 16, v7
	s_delay_alu instid0(VALU_DEP_3) | instskip(SKIP_4) | instid1(VALU_DEP_3)
	v_and_or_b32 v2, 0xffe, v4, v2
	s_wait_alu 0xfffd
	v_cndmask_b32_e64 v6, 0, 1, vcc_lo
	v_sub_nc_u32_e32 v4, 0x3f1, v10
	v_add_nc_u32_e32 v10, 0xfffffc10, v10
	v_and_or_b32 v6, 0xffe, v9, v6
	v_med3_i32 v9, v11, 0, 13
	v_or_b32_e32 v11, 0x1000, v2
	v_med3_i32 v4, v4, 0, 13
	s_delay_alu instid0(VALU_DEP_4) | instskip(NEXT) | instid1(VALU_DEP_3)
	v_or_b32_e32 v12, 0x1000, v6
	v_lshrrev_b32_e32 v13, v9, v11
	s_delay_alu instid0(VALU_DEP_2) | instskip(NEXT) | instid1(VALU_DEP_2)
	v_lshrrev_b32_e32 v14, v4, v12
	v_lshlrev_b32_e32 v9, v9, v13
	s_delay_alu instid0(VALU_DEP_2) | instskip(NEXT) | instid1(VALU_DEP_2)
	v_lshlrev_b32_e32 v4, v4, v14
	v_cmp_ne_u32_e32 vcc_lo, v9, v11
	v_lshl_or_b32 v11, v8, 12, v2
	s_wait_alu 0xfffd
	v_cndmask_b32_e64 v9, 0, 1, vcc_lo
	v_cmp_ne_u32_e32 vcc_lo, v4, v12
	v_lshl_or_b32 v12, v10, 12, v6
	s_delay_alu instid0(VALU_DEP_3) | instskip(SKIP_3) | instid1(VALU_DEP_2)
	v_or_b32_e32 v9, v13, v9
	s_wait_alu 0xfffd
	v_cndmask_b32_e64 v4, 0, 1, vcc_lo
	v_cmp_gt_i32_e32 vcc_lo, 1, v8
	v_or_b32_e32 v4, v14, v4
	s_wait_alu 0xfffd
	v_cndmask_b32_e32 v9, v11, v9, vcc_lo
	v_cmp_gt_i32_e32 vcc_lo, 1, v10
	s_wait_alu 0xfffd
	s_delay_alu instid0(VALU_DEP_2) | instskip(SKIP_2) | instid1(VALU_DEP_3)
	v_dual_cndmask_b32 v4, v12, v4 :: v_dual_and_b32 v11, 7, v9
	v_cmp_ne_u32_e32 vcc_lo, 0, v2
	v_lshrrev_b32_e32 v9, 2, v9
	v_cmp_eq_u32_e64 s0, 3, v11
	s_delay_alu instid0(VALU_DEP_4)
	v_and_b32_e32 v12, 7, v4
	s_wait_alu 0xfffd
	v_cndmask_b32_e64 v2, 0, 1, vcc_lo
	v_cmp_ne_u32_e32 vcc_lo, 0, v6
	v_lshrrev_b32_e32 v4, 2, v4
	v_cmp_lt_i32_e64 s1, 5, v12
	v_cmp_eq_u32_e64 s2, 3, v12
	s_wait_alu 0xfffd
	v_cndmask_b32_e64 v6, 0, 1, vcc_lo
	v_cmp_lt_i32_e32 vcc_lo, 5, v11
	v_lshl_or_b32 v2, v2, 9, 0x7c00
	s_delay_alu instid0(VALU_DEP_3)
	v_lshl_or_b32 v6, v6, 9, 0x7c00
	s_or_b32 vcc_lo, s0, vcc_lo
	s_wait_alu 0xfffe
	v_add_co_ci_u32_e32 v9, vcc_lo, 0, v9, vcc_lo
	s_or_b32 vcc_lo, s2, s1
	s_wait_alu 0xfffe
	v_add_co_ci_u32_e32 v4, vcc_lo, 0, v4, vcc_lo
	v_cmp_gt_i32_e32 vcc_lo, 31, v8
	s_wait_alu 0xfffd
	v_cndmask_b32_e32 v9, 0x7c00, v9, vcc_lo
	v_cmp_gt_i32_e32 vcc_lo, 31, v10
	s_wait_alu 0xfffd
	v_cndmask_b32_e32 v4, 0x7c00, v4, vcc_lo
	v_cmp_eq_u32_e32 vcc_lo, 0x40f, v8
	s_wait_alu 0xfffd
	v_cndmask_b32_e32 v2, v9, v2, vcc_lo
	v_cmp_eq_u32_e32 vcc_lo, 0x40f, v10
	s_delay_alu instid0(VALU_DEP_2)
	v_and_or_b32 v2, 0x8000, v5, v2
	s_wait_alu 0xfffd
	v_cndmask_b32_e32 v4, v4, v6, vcc_lo
	v_add_co_u32 v0, vcc_lo, v0, s4
	s_wait_alu 0xfffd
	v_add_co_ci_u32_e32 v1, vcc_lo, s5, v1, vcc_lo
	s_delay_alu instid0(VALU_DEP_3) | instskip(SKIP_1) | instid1(VALU_DEP_1)
	v_and_or_b32 v4, 0x8000, v7, v4
	v_and_b32_e32 v2, 0xffff, v2
	v_lshl_or_b32 v2, v4, 16, v2
	v_lshrrev_b32_e32 v4, 16, v3
	global_store_b32 v[0:1], v2, off
	global_load_b32 v2, v49, s[12:13] offset:4680
	s_wait_loadcnt 0x0
	v_lshrrev_b32_e32 v5, 16, v2
	s_delay_alu instid0(VALU_DEP_1) | instskip(SKIP_1) | instid1(VALU_DEP_2)
	v_mul_f16_e32 v6, v4, v5
	v_mul_f16_e32 v5, v3, v5
	v_fmac_f16_e32 v6, v3, v2
	s_delay_alu instid0(VALU_DEP_2) | instskip(NEXT) | instid1(VALU_DEP_2)
	v_fma_f16 v2, v2, v4, -v5
	v_cvt_f32_f16_e32 v3, v6
	s_delay_alu instid0(VALU_DEP_2) | instskip(NEXT) | instid1(VALU_DEP_2)
	v_cvt_f32_f16_e32 v4, v2
	v_cvt_f64_f32_e32 v[2:3], v3
	s_delay_alu instid0(VALU_DEP_2) | instskip(NEXT) | instid1(VALU_DEP_2)
	v_cvt_f64_f32_e32 v[4:5], v4
	v_mul_f64_e32 v[2:3], s[8:9], v[2:3]
	s_delay_alu instid0(VALU_DEP_2) | instskip(NEXT) | instid1(VALU_DEP_2)
	v_mul_f64_e32 v[4:5], s[8:9], v[4:5]
	v_and_or_b32 v2, 0x1ff, v3, v2
	s_delay_alu instid0(VALU_DEP_2)
	v_and_or_b32 v4, 0x1ff, v5, v4
	v_lshrrev_b32_e32 v6, 8, v3
	v_bfe_u32 v7, v3, 20, 11
	v_lshrrev_b32_e32 v8, 8, v5
	v_cmp_ne_u32_e32 vcc_lo, 0, v2
	v_bfe_u32 v9, v5, 20, 11
	v_lshrrev_b32_e32 v3, 16, v3
	v_sub_nc_u32_e32 v10, 0x3f1, v7
	v_add_nc_u32_e32 v7, 0xfffffc10, v7
	s_wait_alu 0xfffd
	v_cndmask_b32_e64 v2, 0, 1, vcc_lo
	v_cmp_ne_u32_e32 vcc_lo, 0, v4
	v_lshrrev_b32_e32 v5, 16, v5
	s_delay_alu instid0(VALU_DEP_3) | instskip(SKIP_4) | instid1(VALU_DEP_3)
	v_and_or_b32 v2, 0xffe, v6, v2
	s_wait_alu 0xfffd
	v_cndmask_b32_e64 v4, 0, 1, vcc_lo
	v_sub_nc_u32_e32 v6, 0x3f1, v9
	v_add_nc_u32_e32 v9, 0xfffffc10, v9
	v_and_or_b32 v4, 0xffe, v8, v4
	v_med3_i32 v8, v10, 0, 13
	v_or_b32_e32 v10, 0x1000, v2
	v_med3_i32 v6, v6, 0, 13
	s_delay_alu instid0(VALU_DEP_4) | instskip(NEXT) | instid1(VALU_DEP_3)
	v_or_b32_e32 v11, 0x1000, v4
	v_lshrrev_b32_e32 v12, v8, v10
	s_delay_alu instid0(VALU_DEP_2) | instskip(NEXT) | instid1(VALU_DEP_2)
	v_lshrrev_b32_e32 v13, v6, v11
	v_lshlrev_b32_e32 v8, v8, v12
	s_delay_alu instid0(VALU_DEP_2) | instskip(NEXT) | instid1(VALU_DEP_2)
	v_lshlrev_b32_e32 v6, v6, v13
	v_cmp_ne_u32_e32 vcc_lo, v8, v10
	v_lshl_or_b32 v10, v7, 12, v2
	s_wait_alu 0xfffd
	v_cndmask_b32_e64 v8, 0, 1, vcc_lo
	v_cmp_ne_u32_e32 vcc_lo, v6, v11
	v_lshl_or_b32 v11, v9, 12, v4
	s_delay_alu instid0(VALU_DEP_3) | instskip(SKIP_3) | instid1(VALU_DEP_2)
	v_or_b32_e32 v8, v12, v8
	s_wait_alu 0xfffd
	v_cndmask_b32_e64 v6, 0, 1, vcc_lo
	v_cmp_gt_i32_e32 vcc_lo, 1, v7
	v_or_b32_e32 v6, v13, v6
	s_wait_alu 0xfffd
	v_cndmask_b32_e32 v8, v10, v8, vcc_lo
	v_cmp_gt_i32_e32 vcc_lo, 1, v9
	s_delay_alu instid0(VALU_DEP_2)
	v_and_b32_e32 v10, 7, v8
	s_wait_alu 0xfffd
	v_cndmask_b32_e32 v6, v11, v6, vcc_lo
	v_cmp_ne_u32_e32 vcc_lo, 0, v2
	v_lshrrev_b32_e32 v8, 2, v8
	v_cmp_eq_u32_e64 s0, 3, v10
	s_delay_alu instid0(VALU_DEP_4)
	v_and_b32_e32 v11, 7, v6
	s_wait_alu 0xfffd
	v_cndmask_b32_e64 v2, 0, 1, vcc_lo
	v_cmp_ne_u32_e32 vcc_lo, 0, v4
	v_lshrrev_b32_e32 v6, 2, v6
	v_cmp_lt_i32_e64 s1, 5, v11
	v_cmp_eq_u32_e64 s2, 3, v11
	s_wait_alu 0xfffd
	v_cndmask_b32_e64 v4, 0, 1, vcc_lo
	v_cmp_lt_i32_e32 vcc_lo, 5, v10
	v_lshl_or_b32 v2, v2, 9, 0x7c00
	s_delay_alu instid0(VALU_DEP_3)
	v_lshl_or_b32 v4, v4, 9, 0x7c00
	s_or_b32 vcc_lo, s0, vcc_lo
	s_wait_alu 0xfffe
	v_add_co_ci_u32_e32 v8, vcc_lo, 0, v8, vcc_lo
	s_or_b32 vcc_lo, s2, s1
	s_wait_alu 0xfffe
	v_add_co_ci_u32_e32 v6, vcc_lo, 0, v6, vcc_lo
	v_cmp_gt_i32_e32 vcc_lo, 31, v7
	s_wait_alu 0xfffd
	v_cndmask_b32_e32 v8, 0x7c00, v8, vcc_lo
	v_cmp_gt_i32_e32 vcc_lo, 31, v9
	s_wait_alu 0xfffd
	v_cndmask_b32_e32 v6, 0x7c00, v6, vcc_lo
	v_cmp_eq_u32_e32 vcc_lo, 0x40f, v7
	s_wait_alu 0xfffd
	v_cndmask_b32_e32 v2, v8, v2, vcc_lo
	v_cmp_eq_u32_e32 vcc_lo, 0x40f, v9
	s_delay_alu instid0(VALU_DEP_2)
	v_and_or_b32 v2, 0x8000, v3, v2
	s_wait_alu 0xfffd
	v_cndmask_b32_e32 v4, v6, v4, vcc_lo
	v_add_co_u32 v0, vcc_lo, v0, s4
	s_wait_alu 0xfffd
	v_add_co_ci_u32_e32 v1, vcc_lo, s5, v1, vcc_lo
	s_delay_alu instid0(VALU_DEP_3) | instskip(SKIP_1) | instid1(VALU_DEP_1)
	v_and_or_b32 v3, 0x8000, v5, v4
	v_and_b32_e32 v2, 0xffff, v2
	v_lshl_or_b32 v2, v3, 16, v2
	global_store_b32 v[0:1], v2, off
	global_load_b32 v4, v49, s[12:13] offset:5148
	v_add_nc_u32_e32 v2, 0x1400, v49
	ds_load_2addr_b32 v[2:3], v2 offset0:7 offset1:124
	s_wait_dscnt 0x0
	v_lshrrev_b32_e32 v5, 16, v2
	s_wait_loadcnt 0x0
	v_lshrrev_b32_e32 v6, 16, v4
	s_delay_alu instid0(VALU_DEP_1) | instskip(SKIP_1) | instid1(VALU_DEP_2)
	v_mul_f16_e32 v7, v5, v6
	v_mul_f16_e32 v6, v2, v6
	v_fmac_f16_e32 v7, v2, v4
	s_delay_alu instid0(VALU_DEP_2) | instskip(NEXT) | instid1(VALU_DEP_2)
	v_fma_f16 v2, v4, v5, -v6
	v_cvt_f32_f16_e32 v4, v7
	s_delay_alu instid0(VALU_DEP_2) | instskip(NEXT) | instid1(VALU_DEP_2)
	v_cvt_f32_f16_e32 v2, v2
	v_cvt_f64_f32_e32 v[4:5], v4
	s_delay_alu instid0(VALU_DEP_2) | instskip(NEXT) | instid1(VALU_DEP_2)
	v_cvt_f64_f32_e32 v[6:7], v2
	v_mul_f64_e32 v[4:5], s[8:9], v[4:5]
	s_delay_alu instid0(VALU_DEP_2) | instskip(NEXT) | instid1(VALU_DEP_2)
	v_mul_f64_e32 v[6:7], s[8:9], v[6:7]
	v_and_or_b32 v2, 0x1ff, v5, v4
	s_delay_alu instid0(VALU_DEP_2)
	v_and_or_b32 v6, 0x1ff, v7, v6
	v_lshrrev_b32_e32 v4, 8, v5
	v_bfe_u32 v8, v5, 20, 11
	v_lshrrev_b32_e32 v9, 8, v7
	v_cmp_ne_u32_e32 vcc_lo, 0, v2
	v_bfe_u32 v10, v7, 20, 11
	v_lshrrev_b32_e32 v5, 16, v5
	v_sub_nc_u32_e32 v11, 0x3f1, v8
	v_add_nc_u32_e32 v8, 0xfffffc10, v8
	s_wait_alu 0xfffd
	v_cndmask_b32_e64 v2, 0, 1, vcc_lo
	v_cmp_ne_u32_e32 vcc_lo, 0, v6
	v_lshrrev_b32_e32 v7, 16, v7
	s_delay_alu instid0(VALU_DEP_3) | instskip(SKIP_4) | instid1(VALU_DEP_3)
	v_and_or_b32 v2, 0xffe, v4, v2
	s_wait_alu 0xfffd
	v_cndmask_b32_e64 v6, 0, 1, vcc_lo
	v_sub_nc_u32_e32 v4, 0x3f1, v10
	v_add_nc_u32_e32 v10, 0xfffffc10, v10
	v_and_or_b32 v6, 0xffe, v9, v6
	v_med3_i32 v9, v11, 0, 13
	v_or_b32_e32 v11, 0x1000, v2
	v_med3_i32 v4, v4, 0, 13
	s_delay_alu instid0(VALU_DEP_4) | instskip(NEXT) | instid1(VALU_DEP_3)
	v_or_b32_e32 v12, 0x1000, v6
	v_lshrrev_b32_e32 v13, v9, v11
	s_delay_alu instid0(VALU_DEP_2) | instskip(NEXT) | instid1(VALU_DEP_2)
	v_lshrrev_b32_e32 v14, v4, v12
	v_lshlrev_b32_e32 v9, v9, v13
	s_delay_alu instid0(VALU_DEP_2) | instskip(NEXT) | instid1(VALU_DEP_2)
	v_lshlrev_b32_e32 v4, v4, v14
	v_cmp_ne_u32_e32 vcc_lo, v9, v11
	v_lshl_or_b32 v11, v8, 12, v2
	s_wait_alu 0xfffd
	v_cndmask_b32_e64 v9, 0, 1, vcc_lo
	v_cmp_ne_u32_e32 vcc_lo, v4, v12
	v_lshl_or_b32 v12, v10, 12, v6
	s_delay_alu instid0(VALU_DEP_3) | instskip(SKIP_3) | instid1(VALU_DEP_2)
	v_or_b32_e32 v9, v13, v9
	s_wait_alu 0xfffd
	v_cndmask_b32_e64 v4, 0, 1, vcc_lo
	v_cmp_gt_i32_e32 vcc_lo, 1, v8
	v_or_b32_e32 v4, v14, v4
	s_wait_alu 0xfffd
	v_cndmask_b32_e32 v9, v11, v9, vcc_lo
	v_cmp_gt_i32_e32 vcc_lo, 1, v10
	s_wait_alu 0xfffd
	s_delay_alu instid0(VALU_DEP_2) | instskip(SKIP_2) | instid1(VALU_DEP_3)
	v_dual_cndmask_b32 v4, v12, v4 :: v_dual_and_b32 v11, 7, v9
	v_cmp_ne_u32_e32 vcc_lo, 0, v2
	v_lshrrev_b32_e32 v9, 2, v9
	v_cmp_eq_u32_e64 s0, 3, v11
	s_delay_alu instid0(VALU_DEP_4)
	v_and_b32_e32 v12, 7, v4
	s_wait_alu 0xfffd
	v_cndmask_b32_e64 v2, 0, 1, vcc_lo
	v_cmp_ne_u32_e32 vcc_lo, 0, v6
	v_lshrrev_b32_e32 v4, 2, v4
	v_cmp_lt_i32_e64 s1, 5, v12
	v_cmp_eq_u32_e64 s2, 3, v12
	s_wait_alu 0xfffd
	v_cndmask_b32_e64 v6, 0, 1, vcc_lo
	v_cmp_lt_i32_e32 vcc_lo, 5, v11
	v_lshl_or_b32 v2, v2, 9, 0x7c00
	s_delay_alu instid0(VALU_DEP_3)
	v_lshl_or_b32 v6, v6, 9, 0x7c00
	s_or_b32 vcc_lo, s0, vcc_lo
	s_wait_alu 0xfffe
	v_add_co_ci_u32_e32 v9, vcc_lo, 0, v9, vcc_lo
	s_or_b32 vcc_lo, s2, s1
	s_wait_alu 0xfffe
	v_add_co_ci_u32_e32 v4, vcc_lo, 0, v4, vcc_lo
	v_cmp_gt_i32_e32 vcc_lo, 31, v8
	s_wait_alu 0xfffd
	v_cndmask_b32_e32 v9, 0x7c00, v9, vcc_lo
	v_cmp_gt_i32_e32 vcc_lo, 31, v10
	s_wait_alu 0xfffd
	v_cndmask_b32_e32 v4, 0x7c00, v4, vcc_lo
	v_cmp_eq_u32_e32 vcc_lo, 0x40f, v8
	s_wait_alu 0xfffd
	v_cndmask_b32_e32 v2, v9, v2, vcc_lo
	v_cmp_eq_u32_e32 vcc_lo, 0x40f, v10
	s_delay_alu instid0(VALU_DEP_2)
	v_and_or_b32 v2, 0x8000, v5, v2
	s_wait_alu 0xfffd
	v_cndmask_b32_e32 v4, v4, v6, vcc_lo
	v_add_co_u32 v0, vcc_lo, v0, s4
	s_wait_alu 0xfffd
	v_add_co_ci_u32_e32 v1, vcc_lo, s5, v1, vcc_lo
	s_delay_alu instid0(VALU_DEP_3) | instskip(SKIP_1) | instid1(VALU_DEP_1)
	v_and_or_b32 v4, 0x8000, v7, v4
	v_and_b32_e32 v2, 0xffff, v2
	v_lshl_or_b32 v2, v4, 16, v2
	v_lshrrev_b32_e32 v4, 16, v3
	global_store_b32 v[0:1], v2, off
	global_load_b32 v2, v49, s[12:13] offset:5616
	s_wait_loadcnt 0x0
	v_lshrrev_b32_e32 v5, 16, v2
	s_delay_alu instid0(VALU_DEP_1) | instskip(SKIP_1) | instid1(VALU_DEP_2)
	v_mul_f16_e32 v6, v4, v5
	v_mul_f16_e32 v5, v3, v5
	v_fmac_f16_e32 v6, v3, v2
	s_delay_alu instid0(VALU_DEP_2) | instskip(NEXT) | instid1(VALU_DEP_2)
	v_fma_f16 v2, v2, v4, -v5
	v_cvt_f32_f16_e32 v3, v6
	s_delay_alu instid0(VALU_DEP_2) | instskip(NEXT) | instid1(VALU_DEP_2)
	v_cvt_f32_f16_e32 v4, v2
	v_cvt_f64_f32_e32 v[2:3], v3
	s_delay_alu instid0(VALU_DEP_2) | instskip(NEXT) | instid1(VALU_DEP_2)
	v_cvt_f64_f32_e32 v[4:5], v4
	v_mul_f64_e32 v[2:3], s[8:9], v[2:3]
	s_delay_alu instid0(VALU_DEP_2) | instskip(NEXT) | instid1(VALU_DEP_2)
	v_mul_f64_e32 v[4:5], s[8:9], v[4:5]
	v_and_or_b32 v2, 0x1ff, v3, v2
	s_delay_alu instid0(VALU_DEP_2)
	v_and_or_b32 v4, 0x1ff, v5, v4
	v_lshrrev_b32_e32 v6, 8, v3
	v_bfe_u32 v7, v3, 20, 11
	v_lshrrev_b32_e32 v8, 8, v5
	v_cmp_ne_u32_e32 vcc_lo, 0, v2
	v_bfe_u32 v9, v5, 20, 11
	v_lshrrev_b32_e32 v3, 16, v3
	v_sub_nc_u32_e32 v10, 0x3f1, v7
	v_add_nc_u32_e32 v7, 0xfffffc10, v7
	s_wait_alu 0xfffd
	v_cndmask_b32_e64 v2, 0, 1, vcc_lo
	v_cmp_ne_u32_e32 vcc_lo, 0, v4
	v_lshrrev_b32_e32 v5, 16, v5
	s_delay_alu instid0(VALU_DEP_3) | instskip(SKIP_4) | instid1(VALU_DEP_3)
	v_and_or_b32 v2, 0xffe, v6, v2
	s_wait_alu 0xfffd
	v_cndmask_b32_e64 v4, 0, 1, vcc_lo
	v_sub_nc_u32_e32 v6, 0x3f1, v9
	v_add_nc_u32_e32 v9, 0xfffffc10, v9
	v_and_or_b32 v4, 0xffe, v8, v4
	v_med3_i32 v8, v10, 0, 13
	v_or_b32_e32 v10, 0x1000, v2
	v_med3_i32 v6, v6, 0, 13
	s_delay_alu instid0(VALU_DEP_4) | instskip(NEXT) | instid1(VALU_DEP_3)
	v_or_b32_e32 v11, 0x1000, v4
	v_lshrrev_b32_e32 v12, v8, v10
	s_delay_alu instid0(VALU_DEP_2) | instskip(NEXT) | instid1(VALU_DEP_2)
	v_lshrrev_b32_e32 v13, v6, v11
	v_lshlrev_b32_e32 v8, v8, v12
	s_delay_alu instid0(VALU_DEP_2) | instskip(NEXT) | instid1(VALU_DEP_2)
	v_lshlrev_b32_e32 v6, v6, v13
	v_cmp_ne_u32_e32 vcc_lo, v8, v10
	v_lshl_or_b32 v10, v7, 12, v2
	s_wait_alu 0xfffd
	v_cndmask_b32_e64 v8, 0, 1, vcc_lo
	v_cmp_ne_u32_e32 vcc_lo, v6, v11
	v_lshl_or_b32 v11, v9, 12, v4
	s_delay_alu instid0(VALU_DEP_3) | instskip(SKIP_3) | instid1(VALU_DEP_2)
	v_or_b32_e32 v8, v12, v8
	s_wait_alu 0xfffd
	v_cndmask_b32_e64 v6, 0, 1, vcc_lo
	v_cmp_gt_i32_e32 vcc_lo, 1, v7
	v_or_b32_e32 v6, v13, v6
	s_wait_alu 0xfffd
	v_cndmask_b32_e32 v8, v10, v8, vcc_lo
	v_cmp_gt_i32_e32 vcc_lo, 1, v9
	s_delay_alu instid0(VALU_DEP_2)
	v_and_b32_e32 v10, 7, v8
	s_wait_alu 0xfffd
	v_cndmask_b32_e32 v6, v11, v6, vcc_lo
	v_cmp_ne_u32_e32 vcc_lo, 0, v2
	v_lshrrev_b32_e32 v8, 2, v8
	v_cmp_eq_u32_e64 s0, 3, v10
	s_delay_alu instid0(VALU_DEP_4)
	v_and_b32_e32 v11, 7, v6
	s_wait_alu 0xfffd
	v_cndmask_b32_e64 v2, 0, 1, vcc_lo
	v_cmp_ne_u32_e32 vcc_lo, 0, v4
	v_lshrrev_b32_e32 v6, 2, v6
	v_cmp_lt_i32_e64 s1, 5, v11
	v_cmp_eq_u32_e64 s2, 3, v11
	s_wait_alu 0xfffd
	v_cndmask_b32_e64 v4, 0, 1, vcc_lo
	v_cmp_lt_i32_e32 vcc_lo, 5, v10
	v_lshl_or_b32 v2, v2, 9, 0x7c00
	s_delay_alu instid0(VALU_DEP_3)
	v_lshl_or_b32 v4, v4, 9, 0x7c00
	s_or_b32 vcc_lo, s0, vcc_lo
	s_wait_alu 0xfffe
	v_add_co_ci_u32_e32 v8, vcc_lo, 0, v8, vcc_lo
	s_or_b32 vcc_lo, s2, s1
	s_wait_alu 0xfffe
	v_add_co_ci_u32_e32 v6, vcc_lo, 0, v6, vcc_lo
	v_cmp_gt_i32_e32 vcc_lo, 31, v7
	s_wait_alu 0xfffd
	v_cndmask_b32_e32 v8, 0x7c00, v8, vcc_lo
	v_cmp_gt_i32_e32 vcc_lo, 31, v9
	s_wait_alu 0xfffd
	v_cndmask_b32_e32 v6, 0x7c00, v6, vcc_lo
	v_cmp_eq_u32_e32 vcc_lo, 0x40f, v7
	s_wait_alu 0xfffd
	v_cndmask_b32_e32 v2, v8, v2, vcc_lo
	v_cmp_eq_u32_e32 vcc_lo, 0x40f, v9
	s_delay_alu instid0(VALU_DEP_2)
	v_and_or_b32 v2, 0x8000, v3, v2
	s_wait_alu 0xfffd
	v_cndmask_b32_e32 v4, v6, v4, vcc_lo
	v_add_co_u32 v0, vcc_lo, v0, s4
	s_wait_alu 0xfffd
	v_add_co_ci_u32_e32 v1, vcc_lo, s5, v1, vcc_lo
	s_delay_alu instid0(VALU_DEP_3) | instskip(SKIP_1) | instid1(VALU_DEP_1)
	v_and_or_b32 v3, 0x8000, v5, v4
	v_and_b32_e32 v2, 0xffff, v2
	v_lshl_or_b32 v2, v3, 16, v2
	global_store_b32 v[0:1], v2, off
	global_load_b32 v4, v49, s[12:13] offset:6084
	v_add_nc_u32_e32 v2, 0x1600, v49
	ds_load_2addr_b32 v[2:3], v2 offset0:113 offset1:230
	s_wait_dscnt 0x0
	v_lshrrev_b32_e32 v5, 16, v2
	s_wait_loadcnt 0x0
	v_lshrrev_b32_e32 v6, 16, v4
	s_delay_alu instid0(VALU_DEP_1) | instskip(SKIP_1) | instid1(VALU_DEP_2)
	v_mul_f16_e32 v7, v5, v6
	v_mul_f16_e32 v6, v2, v6
	v_fmac_f16_e32 v7, v2, v4
	s_delay_alu instid0(VALU_DEP_2) | instskip(NEXT) | instid1(VALU_DEP_2)
	v_fma_f16 v2, v4, v5, -v6
	v_cvt_f32_f16_e32 v4, v7
	s_delay_alu instid0(VALU_DEP_2) | instskip(NEXT) | instid1(VALU_DEP_2)
	v_cvt_f32_f16_e32 v2, v2
	v_cvt_f64_f32_e32 v[4:5], v4
	s_delay_alu instid0(VALU_DEP_2) | instskip(NEXT) | instid1(VALU_DEP_2)
	v_cvt_f64_f32_e32 v[6:7], v2
	v_mul_f64_e32 v[4:5], s[8:9], v[4:5]
	s_delay_alu instid0(VALU_DEP_2) | instskip(NEXT) | instid1(VALU_DEP_2)
	v_mul_f64_e32 v[6:7], s[8:9], v[6:7]
	v_and_or_b32 v2, 0x1ff, v5, v4
	s_delay_alu instid0(VALU_DEP_2)
	v_and_or_b32 v6, 0x1ff, v7, v6
	v_lshrrev_b32_e32 v4, 8, v5
	v_bfe_u32 v8, v5, 20, 11
	v_lshrrev_b32_e32 v9, 8, v7
	v_cmp_ne_u32_e32 vcc_lo, 0, v2
	v_bfe_u32 v10, v7, 20, 11
	v_lshrrev_b32_e32 v5, 16, v5
	v_sub_nc_u32_e32 v11, 0x3f1, v8
	v_add_nc_u32_e32 v8, 0xfffffc10, v8
	s_wait_alu 0xfffd
	v_cndmask_b32_e64 v2, 0, 1, vcc_lo
	v_cmp_ne_u32_e32 vcc_lo, 0, v6
	v_lshrrev_b32_e32 v7, 16, v7
	s_delay_alu instid0(VALU_DEP_3) | instskip(SKIP_4) | instid1(VALU_DEP_3)
	v_and_or_b32 v2, 0xffe, v4, v2
	s_wait_alu 0xfffd
	v_cndmask_b32_e64 v6, 0, 1, vcc_lo
	v_sub_nc_u32_e32 v4, 0x3f1, v10
	v_add_nc_u32_e32 v10, 0xfffffc10, v10
	v_and_or_b32 v6, 0xffe, v9, v6
	v_med3_i32 v9, v11, 0, 13
	v_or_b32_e32 v11, 0x1000, v2
	v_med3_i32 v4, v4, 0, 13
	s_delay_alu instid0(VALU_DEP_4) | instskip(NEXT) | instid1(VALU_DEP_3)
	v_or_b32_e32 v12, 0x1000, v6
	v_lshrrev_b32_e32 v13, v9, v11
	s_delay_alu instid0(VALU_DEP_2) | instskip(NEXT) | instid1(VALU_DEP_2)
	v_lshrrev_b32_e32 v14, v4, v12
	v_lshlrev_b32_e32 v9, v9, v13
	s_delay_alu instid0(VALU_DEP_2) | instskip(NEXT) | instid1(VALU_DEP_2)
	v_lshlrev_b32_e32 v4, v4, v14
	v_cmp_ne_u32_e32 vcc_lo, v9, v11
	v_lshl_or_b32 v11, v8, 12, v2
	s_wait_alu 0xfffd
	v_cndmask_b32_e64 v9, 0, 1, vcc_lo
	v_cmp_ne_u32_e32 vcc_lo, v4, v12
	v_lshl_or_b32 v12, v10, 12, v6
	s_delay_alu instid0(VALU_DEP_3) | instskip(SKIP_3) | instid1(VALU_DEP_2)
	v_or_b32_e32 v9, v13, v9
	s_wait_alu 0xfffd
	v_cndmask_b32_e64 v4, 0, 1, vcc_lo
	v_cmp_gt_i32_e32 vcc_lo, 1, v8
	v_or_b32_e32 v4, v14, v4
	s_wait_alu 0xfffd
	v_cndmask_b32_e32 v9, v11, v9, vcc_lo
	v_cmp_gt_i32_e32 vcc_lo, 1, v10
	s_wait_alu 0xfffd
	s_delay_alu instid0(VALU_DEP_2) | instskip(SKIP_2) | instid1(VALU_DEP_3)
	v_dual_cndmask_b32 v4, v12, v4 :: v_dual_and_b32 v11, 7, v9
	v_cmp_ne_u32_e32 vcc_lo, 0, v2
	v_lshrrev_b32_e32 v9, 2, v9
	v_cmp_eq_u32_e64 s0, 3, v11
	s_delay_alu instid0(VALU_DEP_4)
	v_and_b32_e32 v12, 7, v4
	s_wait_alu 0xfffd
	v_cndmask_b32_e64 v2, 0, 1, vcc_lo
	v_cmp_ne_u32_e32 vcc_lo, 0, v6
	v_lshrrev_b32_e32 v4, 2, v4
	v_cmp_lt_i32_e64 s1, 5, v12
	v_cmp_eq_u32_e64 s2, 3, v12
	s_wait_alu 0xfffd
	v_cndmask_b32_e64 v6, 0, 1, vcc_lo
	v_cmp_lt_i32_e32 vcc_lo, 5, v11
	v_lshl_or_b32 v2, v2, 9, 0x7c00
	s_delay_alu instid0(VALU_DEP_3)
	v_lshl_or_b32 v6, v6, 9, 0x7c00
	s_or_b32 vcc_lo, s0, vcc_lo
	s_wait_alu 0xfffe
	v_add_co_ci_u32_e32 v9, vcc_lo, 0, v9, vcc_lo
	s_or_b32 vcc_lo, s2, s1
	s_wait_alu 0xfffe
	v_add_co_ci_u32_e32 v4, vcc_lo, 0, v4, vcc_lo
	v_cmp_gt_i32_e32 vcc_lo, 31, v8
	s_wait_alu 0xfffd
	v_cndmask_b32_e32 v9, 0x7c00, v9, vcc_lo
	v_cmp_gt_i32_e32 vcc_lo, 31, v10
	s_wait_alu 0xfffd
	v_cndmask_b32_e32 v4, 0x7c00, v4, vcc_lo
	v_cmp_eq_u32_e32 vcc_lo, 0x40f, v8
	s_wait_alu 0xfffd
	v_cndmask_b32_e32 v2, v9, v2, vcc_lo
	v_cmp_eq_u32_e32 vcc_lo, 0x40f, v10
	s_delay_alu instid0(VALU_DEP_2)
	v_and_or_b32 v2, 0x8000, v5, v2
	s_wait_alu 0xfffd
	v_cndmask_b32_e32 v4, v4, v6, vcc_lo
	v_add_co_u32 v0, vcc_lo, v0, s4
	s_wait_alu 0xfffd
	v_add_co_ci_u32_e32 v1, vcc_lo, s5, v1, vcc_lo
	s_delay_alu instid0(VALU_DEP_3) | instskip(SKIP_1) | instid1(VALU_DEP_1)
	v_and_or_b32 v4, 0x8000, v7, v4
	v_and_b32_e32 v2, 0xffff, v2
	v_lshl_or_b32 v2, v4, 16, v2
	v_lshrrev_b32_e32 v4, 16, v3
	global_store_b32 v[0:1], v2, off
	global_load_b32 v2, v49, s[12:13] offset:6552
	s_wait_loadcnt 0x0
	v_lshrrev_b32_e32 v5, 16, v2
	s_delay_alu instid0(VALU_DEP_1) | instskip(SKIP_1) | instid1(VALU_DEP_2)
	v_mul_f16_e32 v6, v4, v5
	v_mul_f16_e32 v5, v3, v5
	v_fmac_f16_e32 v6, v3, v2
	s_delay_alu instid0(VALU_DEP_2) | instskip(NEXT) | instid1(VALU_DEP_2)
	v_fma_f16 v2, v2, v4, -v5
	v_cvt_f32_f16_e32 v3, v6
	s_delay_alu instid0(VALU_DEP_2) | instskip(NEXT) | instid1(VALU_DEP_2)
	v_cvt_f32_f16_e32 v4, v2
	v_cvt_f64_f32_e32 v[2:3], v3
	s_delay_alu instid0(VALU_DEP_2) | instskip(NEXT) | instid1(VALU_DEP_2)
	v_cvt_f64_f32_e32 v[4:5], v4
	v_mul_f64_e32 v[2:3], s[8:9], v[2:3]
	s_delay_alu instid0(VALU_DEP_2) | instskip(NEXT) | instid1(VALU_DEP_2)
	v_mul_f64_e32 v[4:5], s[8:9], v[4:5]
	v_and_or_b32 v2, 0x1ff, v3, v2
	s_delay_alu instid0(VALU_DEP_2)
	v_and_or_b32 v4, 0x1ff, v5, v4
	v_lshrrev_b32_e32 v6, 8, v3
	v_bfe_u32 v7, v3, 20, 11
	v_lshrrev_b32_e32 v8, 8, v5
	v_cmp_ne_u32_e32 vcc_lo, 0, v2
	v_bfe_u32 v9, v5, 20, 11
	v_lshrrev_b32_e32 v3, 16, v3
	v_sub_nc_u32_e32 v10, 0x3f1, v7
	v_add_nc_u32_e32 v7, 0xfffffc10, v7
	s_wait_alu 0xfffd
	v_cndmask_b32_e64 v2, 0, 1, vcc_lo
	v_cmp_ne_u32_e32 vcc_lo, 0, v4
	v_lshrrev_b32_e32 v5, 16, v5
	s_delay_alu instid0(VALU_DEP_3) | instskip(SKIP_4) | instid1(VALU_DEP_3)
	v_and_or_b32 v2, 0xffe, v6, v2
	s_wait_alu 0xfffd
	v_cndmask_b32_e64 v4, 0, 1, vcc_lo
	v_sub_nc_u32_e32 v6, 0x3f1, v9
	v_add_nc_u32_e32 v9, 0xfffffc10, v9
	v_and_or_b32 v4, 0xffe, v8, v4
	v_med3_i32 v8, v10, 0, 13
	v_or_b32_e32 v10, 0x1000, v2
	v_med3_i32 v6, v6, 0, 13
	s_delay_alu instid0(VALU_DEP_4) | instskip(NEXT) | instid1(VALU_DEP_3)
	v_or_b32_e32 v11, 0x1000, v4
	v_lshrrev_b32_e32 v12, v8, v10
	s_delay_alu instid0(VALU_DEP_2) | instskip(NEXT) | instid1(VALU_DEP_2)
	v_lshrrev_b32_e32 v13, v6, v11
	v_lshlrev_b32_e32 v8, v8, v12
	s_delay_alu instid0(VALU_DEP_2) | instskip(NEXT) | instid1(VALU_DEP_2)
	v_lshlrev_b32_e32 v6, v6, v13
	v_cmp_ne_u32_e32 vcc_lo, v8, v10
	v_lshl_or_b32 v10, v7, 12, v2
	s_wait_alu 0xfffd
	v_cndmask_b32_e64 v8, 0, 1, vcc_lo
	v_cmp_ne_u32_e32 vcc_lo, v6, v11
	v_lshl_or_b32 v11, v9, 12, v4
	s_delay_alu instid0(VALU_DEP_3) | instskip(SKIP_3) | instid1(VALU_DEP_2)
	v_or_b32_e32 v8, v12, v8
	s_wait_alu 0xfffd
	v_cndmask_b32_e64 v6, 0, 1, vcc_lo
	v_cmp_gt_i32_e32 vcc_lo, 1, v7
	v_or_b32_e32 v6, v13, v6
	s_wait_alu 0xfffd
	v_cndmask_b32_e32 v8, v10, v8, vcc_lo
	v_cmp_gt_i32_e32 vcc_lo, 1, v9
	s_delay_alu instid0(VALU_DEP_2)
	v_and_b32_e32 v10, 7, v8
	s_wait_alu 0xfffd
	v_cndmask_b32_e32 v6, v11, v6, vcc_lo
	v_cmp_ne_u32_e32 vcc_lo, 0, v2
	v_lshrrev_b32_e32 v8, 2, v8
	v_cmp_eq_u32_e64 s0, 3, v10
	s_delay_alu instid0(VALU_DEP_4)
	v_and_b32_e32 v11, 7, v6
	s_wait_alu 0xfffd
	v_cndmask_b32_e64 v2, 0, 1, vcc_lo
	v_cmp_ne_u32_e32 vcc_lo, 0, v4
	v_lshrrev_b32_e32 v6, 2, v6
	v_cmp_lt_i32_e64 s1, 5, v11
	v_cmp_eq_u32_e64 s2, 3, v11
	s_wait_alu 0xfffd
	v_cndmask_b32_e64 v4, 0, 1, vcc_lo
	v_cmp_lt_i32_e32 vcc_lo, 5, v10
	v_lshl_or_b32 v2, v2, 9, 0x7c00
	s_delay_alu instid0(VALU_DEP_3)
	v_lshl_or_b32 v4, v4, 9, 0x7c00
	s_or_b32 vcc_lo, s0, vcc_lo
	s_wait_alu 0xfffe
	v_add_co_ci_u32_e32 v8, vcc_lo, 0, v8, vcc_lo
	s_or_b32 vcc_lo, s2, s1
	s_wait_alu 0xfffe
	v_add_co_ci_u32_e32 v6, vcc_lo, 0, v6, vcc_lo
	v_cmp_gt_i32_e32 vcc_lo, 31, v7
	s_wait_alu 0xfffd
	v_cndmask_b32_e32 v8, 0x7c00, v8, vcc_lo
	v_cmp_gt_i32_e32 vcc_lo, 31, v9
	s_wait_alu 0xfffd
	v_cndmask_b32_e32 v6, 0x7c00, v6, vcc_lo
	v_cmp_eq_u32_e32 vcc_lo, 0x40f, v7
	s_wait_alu 0xfffd
	v_cndmask_b32_e32 v2, v8, v2, vcc_lo
	v_cmp_eq_u32_e32 vcc_lo, 0x40f, v9
	s_delay_alu instid0(VALU_DEP_2)
	v_and_or_b32 v2, 0x8000, v3, v2
	s_wait_alu 0xfffd
	v_cndmask_b32_e32 v4, v6, v4, vcc_lo
	v_add_co_u32 v0, vcc_lo, v0, s4
	s_wait_alu 0xfffd
	v_add_co_ci_u32_e32 v1, vcc_lo, s5, v1, vcc_lo
	s_delay_alu instid0(VALU_DEP_3) | instskip(SKIP_1) | instid1(VALU_DEP_1)
	v_and_or_b32 v3, 0x8000, v5, v4
	v_and_b32_e32 v2, 0xffff, v2
	v_lshl_or_b32 v2, v3, 16, v2
	global_store_b32 v[0:1], v2, off
	global_load_b32 v4, v49, s[12:13] offset:7020
	v_add_nc_u32_e32 v2, 0x1a00, v49
	ds_load_2addr_b32 v[2:3], v2 offset0:91 offset1:208
	s_wait_dscnt 0x0
	v_lshrrev_b32_e32 v5, 16, v2
	s_wait_loadcnt 0x0
	v_lshrrev_b32_e32 v6, 16, v4
	s_delay_alu instid0(VALU_DEP_1) | instskip(SKIP_1) | instid1(VALU_DEP_2)
	v_mul_f16_e32 v7, v5, v6
	v_mul_f16_e32 v6, v2, v6
	v_fmac_f16_e32 v7, v2, v4
	s_delay_alu instid0(VALU_DEP_2) | instskip(NEXT) | instid1(VALU_DEP_2)
	v_fma_f16 v2, v4, v5, -v6
	v_cvt_f32_f16_e32 v4, v7
	s_delay_alu instid0(VALU_DEP_2) | instskip(NEXT) | instid1(VALU_DEP_2)
	v_cvt_f32_f16_e32 v2, v2
	v_cvt_f64_f32_e32 v[4:5], v4
	s_delay_alu instid0(VALU_DEP_2) | instskip(NEXT) | instid1(VALU_DEP_2)
	v_cvt_f64_f32_e32 v[6:7], v2
	v_mul_f64_e32 v[4:5], s[8:9], v[4:5]
	s_delay_alu instid0(VALU_DEP_2) | instskip(NEXT) | instid1(VALU_DEP_2)
	v_mul_f64_e32 v[6:7], s[8:9], v[6:7]
	v_and_or_b32 v2, 0x1ff, v5, v4
	s_delay_alu instid0(VALU_DEP_2)
	v_and_or_b32 v6, 0x1ff, v7, v6
	v_lshrrev_b32_e32 v4, 8, v5
	v_bfe_u32 v8, v5, 20, 11
	v_lshrrev_b32_e32 v9, 8, v7
	v_cmp_ne_u32_e32 vcc_lo, 0, v2
	v_bfe_u32 v10, v7, 20, 11
	v_lshrrev_b32_e32 v5, 16, v5
	v_sub_nc_u32_e32 v11, 0x3f1, v8
	v_add_nc_u32_e32 v8, 0xfffffc10, v8
	s_wait_alu 0xfffd
	v_cndmask_b32_e64 v2, 0, 1, vcc_lo
	v_cmp_ne_u32_e32 vcc_lo, 0, v6
	v_lshrrev_b32_e32 v7, 16, v7
	s_delay_alu instid0(VALU_DEP_3) | instskip(SKIP_4) | instid1(VALU_DEP_3)
	v_and_or_b32 v2, 0xffe, v4, v2
	s_wait_alu 0xfffd
	v_cndmask_b32_e64 v6, 0, 1, vcc_lo
	v_sub_nc_u32_e32 v4, 0x3f1, v10
	v_add_nc_u32_e32 v10, 0xfffffc10, v10
	v_and_or_b32 v6, 0xffe, v9, v6
	v_med3_i32 v9, v11, 0, 13
	v_or_b32_e32 v11, 0x1000, v2
	v_med3_i32 v4, v4, 0, 13
	s_delay_alu instid0(VALU_DEP_4) | instskip(NEXT) | instid1(VALU_DEP_3)
	v_or_b32_e32 v12, 0x1000, v6
	v_lshrrev_b32_e32 v13, v9, v11
	s_delay_alu instid0(VALU_DEP_2) | instskip(NEXT) | instid1(VALU_DEP_2)
	v_lshrrev_b32_e32 v14, v4, v12
	v_lshlrev_b32_e32 v9, v9, v13
	s_delay_alu instid0(VALU_DEP_2) | instskip(NEXT) | instid1(VALU_DEP_2)
	v_lshlrev_b32_e32 v4, v4, v14
	v_cmp_ne_u32_e32 vcc_lo, v9, v11
	v_lshl_or_b32 v11, v8, 12, v2
	s_wait_alu 0xfffd
	v_cndmask_b32_e64 v9, 0, 1, vcc_lo
	v_cmp_ne_u32_e32 vcc_lo, v4, v12
	v_lshl_or_b32 v12, v10, 12, v6
	s_delay_alu instid0(VALU_DEP_3) | instskip(SKIP_3) | instid1(VALU_DEP_2)
	v_or_b32_e32 v9, v13, v9
	s_wait_alu 0xfffd
	v_cndmask_b32_e64 v4, 0, 1, vcc_lo
	v_cmp_gt_i32_e32 vcc_lo, 1, v8
	v_or_b32_e32 v4, v14, v4
	s_wait_alu 0xfffd
	v_cndmask_b32_e32 v9, v11, v9, vcc_lo
	v_cmp_gt_i32_e32 vcc_lo, 1, v10
	s_wait_alu 0xfffd
	s_delay_alu instid0(VALU_DEP_2) | instskip(SKIP_2) | instid1(VALU_DEP_3)
	v_dual_cndmask_b32 v4, v12, v4 :: v_dual_and_b32 v11, 7, v9
	v_cmp_ne_u32_e32 vcc_lo, 0, v2
	v_lshrrev_b32_e32 v9, 2, v9
	v_cmp_eq_u32_e64 s0, 3, v11
	s_delay_alu instid0(VALU_DEP_4)
	v_and_b32_e32 v12, 7, v4
	s_wait_alu 0xfffd
	v_cndmask_b32_e64 v2, 0, 1, vcc_lo
	v_cmp_ne_u32_e32 vcc_lo, 0, v6
	v_lshrrev_b32_e32 v4, 2, v4
	v_cmp_lt_i32_e64 s1, 5, v12
	v_cmp_eq_u32_e64 s2, 3, v12
	s_wait_alu 0xfffd
	v_cndmask_b32_e64 v6, 0, 1, vcc_lo
	v_cmp_lt_i32_e32 vcc_lo, 5, v11
	v_lshl_or_b32 v2, v2, 9, 0x7c00
	s_delay_alu instid0(VALU_DEP_3)
	v_lshl_or_b32 v6, v6, 9, 0x7c00
	s_or_b32 vcc_lo, s0, vcc_lo
	s_wait_alu 0xfffe
	v_add_co_ci_u32_e32 v9, vcc_lo, 0, v9, vcc_lo
	s_or_b32 vcc_lo, s2, s1
	s_wait_alu 0xfffe
	v_add_co_ci_u32_e32 v4, vcc_lo, 0, v4, vcc_lo
	v_cmp_gt_i32_e32 vcc_lo, 31, v8
	s_wait_alu 0xfffd
	v_cndmask_b32_e32 v9, 0x7c00, v9, vcc_lo
	v_cmp_gt_i32_e32 vcc_lo, 31, v10
	s_wait_alu 0xfffd
	v_cndmask_b32_e32 v4, 0x7c00, v4, vcc_lo
	v_cmp_eq_u32_e32 vcc_lo, 0x40f, v8
	s_wait_alu 0xfffd
	v_cndmask_b32_e32 v2, v9, v2, vcc_lo
	v_cmp_eq_u32_e32 vcc_lo, 0x40f, v10
	s_delay_alu instid0(VALU_DEP_2)
	v_and_or_b32 v2, 0x8000, v5, v2
	s_wait_alu 0xfffd
	v_cndmask_b32_e32 v4, v4, v6, vcc_lo
	v_add_co_u32 v0, vcc_lo, v0, s4
	s_wait_alu 0xfffd
	v_add_co_ci_u32_e32 v1, vcc_lo, s5, v1, vcc_lo
	s_delay_alu instid0(VALU_DEP_3) | instskip(SKIP_1) | instid1(VALU_DEP_1)
	v_and_or_b32 v4, 0x8000, v7, v4
	v_and_b32_e32 v2, 0xffff, v2
	v_lshl_or_b32 v2, v4, 16, v2
	v_lshrrev_b32_e32 v4, 16, v3
	global_store_b32 v[0:1], v2, off
	global_load_b32 v2, v49, s[12:13] offset:7488
	s_wait_loadcnt 0x0
	v_lshrrev_b32_e32 v5, 16, v2
	s_delay_alu instid0(VALU_DEP_1) | instskip(SKIP_1) | instid1(VALU_DEP_2)
	v_mul_f16_e32 v6, v4, v5
	v_mul_f16_e32 v5, v3, v5
	v_fmac_f16_e32 v6, v3, v2
	s_delay_alu instid0(VALU_DEP_2) | instskip(NEXT) | instid1(VALU_DEP_2)
	v_fma_f16 v2, v2, v4, -v5
	v_cvt_f32_f16_e32 v3, v6
	s_delay_alu instid0(VALU_DEP_2) | instskip(NEXT) | instid1(VALU_DEP_2)
	v_cvt_f32_f16_e32 v4, v2
	v_cvt_f64_f32_e32 v[2:3], v3
	s_delay_alu instid0(VALU_DEP_2) | instskip(NEXT) | instid1(VALU_DEP_2)
	v_cvt_f64_f32_e32 v[4:5], v4
	v_mul_f64_e32 v[2:3], s[8:9], v[2:3]
	s_delay_alu instid0(VALU_DEP_2) | instskip(NEXT) | instid1(VALU_DEP_2)
	v_mul_f64_e32 v[4:5], s[8:9], v[4:5]
	v_and_or_b32 v2, 0x1ff, v3, v2
	s_delay_alu instid0(VALU_DEP_2)
	v_and_or_b32 v4, 0x1ff, v5, v4
	v_lshrrev_b32_e32 v6, 8, v3
	v_bfe_u32 v7, v3, 20, 11
	v_lshrrev_b32_e32 v8, 8, v5
	v_cmp_ne_u32_e32 vcc_lo, 0, v2
	v_bfe_u32 v9, v5, 20, 11
	v_lshrrev_b32_e32 v3, 16, v3
	v_sub_nc_u32_e32 v10, 0x3f1, v7
	v_add_nc_u32_e32 v7, 0xfffffc10, v7
	s_wait_alu 0xfffd
	v_cndmask_b32_e64 v2, 0, 1, vcc_lo
	v_cmp_ne_u32_e32 vcc_lo, 0, v4
	v_lshrrev_b32_e32 v5, 16, v5
	s_delay_alu instid0(VALU_DEP_3) | instskip(SKIP_4) | instid1(VALU_DEP_3)
	v_and_or_b32 v2, 0xffe, v6, v2
	s_wait_alu 0xfffd
	v_cndmask_b32_e64 v4, 0, 1, vcc_lo
	v_sub_nc_u32_e32 v6, 0x3f1, v9
	v_add_nc_u32_e32 v9, 0xfffffc10, v9
	v_and_or_b32 v4, 0xffe, v8, v4
	v_med3_i32 v8, v10, 0, 13
	v_or_b32_e32 v10, 0x1000, v2
	v_med3_i32 v6, v6, 0, 13
	s_delay_alu instid0(VALU_DEP_4) | instskip(NEXT) | instid1(VALU_DEP_3)
	v_or_b32_e32 v11, 0x1000, v4
	v_lshrrev_b32_e32 v12, v8, v10
	s_delay_alu instid0(VALU_DEP_2) | instskip(NEXT) | instid1(VALU_DEP_2)
	v_lshrrev_b32_e32 v13, v6, v11
	v_lshlrev_b32_e32 v8, v8, v12
	s_delay_alu instid0(VALU_DEP_2) | instskip(NEXT) | instid1(VALU_DEP_2)
	v_lshlrev_b32_e32 v6, v6, v13
	v_cmp_ne_u32_e32 vcc_lo, v8, v10
	v_lshl_or_b32 v10, v7, 12, v2
	s_wait_alu 0xfffd
	v_cndmask_b32_e64 v8, 0, 1, vcc_lo
	v_cmp_ne_u32_e32 vcc_lo, v6, v11
	v_lshl_or_b32 v11, v9, 12, v4
	s_delay_alu instid0(VALU_DEP_3) | instskip(SKIP_3) | instid1(VALU_DEP_2)
	v_or_b32_e32 v8, v12, v8
	s_wait_alu 0xfffd
	v_cndmask_b32_e64 v6, 0, 1, vcc_lo
	v_cmp_gt_i32_e32 vcc_lo, 1, v7
	v_or_b32_e32 v6, v13, v6
	s_wait_alu 0xfffd
	v_cndmask_b32_e32 v8, v10, v8, vcc_lo
	v_cmp_gt_i32_e32 vcc_lo, 1, v9
	s_delay_alu instid0(VALU_DEP_2)
	v_and_b32_e32 v10, 7, v8
	s_wait_alu 0xfffd
	v_cndmask_b32_e32 v6, v11, v6, vcc_lo
	v_cmp_ne_u32_e32 vcc_lo, 0, v2
	v_lshrrev_b32_e32 v8, 2, v8
	v_cmp_eq_u32_e64 s0, 3, v10
	s_delay_alu instid0(VALU_DEP_4)
	v_and_b32_e32 v11, 7, v6
	s_wait_alu 0xfffd
	v_cndmask_b32_e64 v2, 0, 1, vcc_lo
	v_cmp_ne_u32_e32 vcc_lo, 0, v4
	v_lshrrev_b32_e32 v6, 2, v6
	v_cmp_lt_i32_e64 s1, 5, v11
	v_cmp_eq_u32_e64 s2, 3, v11
	s_wait_alu 0xfffd
	v_cndmask_b32_e64 v4, 0, 1, vcc_lo
	v_cmp_lt_i32_e32 vcc_lo, 5, v10
	v_lshl_or_b32 v2, v2, 9, 0x7c00
	s_delay_alu instid0(VALU_DEP_3)
	v_lshl_or_b32 v4, v4, 9, 0x7c00
	s_or_b32 vcc_lo, s0, vcc_lo
	s_wait_alu 0xfffe
	v_add_co_ci_u32_e32 v8, vcc_lo, 0, v8, vcc_lo
	s_or_b32 vcc_lo, s2, s1
	s_wait_alu 0xfffe
	v_add_co_ci_u32_e32 v6, vcc_lo, 0, v6, vcc_lo
	v_cmp_gt_i32_e32 vcc_lo, 31, v7
	s_wait_alu 0xfffd
	v_cndmask_b32_e32 v8, 0x7c00, v8, vcc_lo
	v_cmp_gt_i32_e32 vcc_lo, 31, v9
	s_wait_alu 0xfffd
	v_cndmask_b32_e32 v6, 0x7c00, v6, vcc_lo
	v_cmp_eq_u32_e32 vcc_lo, 0x40f, v7
	s_wait_alu 0xfffd
	v_cndmask_b32_e32 v2, v8, v2, vcc_lo
	v_cmp_eq_u32_e32 vcc_lo, 0x40f, v9
	s_delay_alu instid0(VALU_DEP_2)
	v_and_or_b32 v2, 0x8000, v3, v2
	s_wait_alu 0xfffd
	v_cndmask_b32_e32 v4, v6, v4, vcc_lo
	v_add_co_u32 v0, vcc_lo, v0, s4
	s_wait_alu 0xfffd
	v_add_co_ci_u32_e32 v1, vcc_lo, s5, v1, vcc_lo
	s_delay_alu instid0(VALU_DEP_3) | instskip(SKIP_1) | instid1(VALU_DEP_1)
	v_and_or_b32 v3, 0x8000, v5, v4
	v_and_b32_e32 v2, 0xffff, v2
	v_lshl_or_b32 v2, v3, 16, v2
	global_store_b32 v[0:1], v2, off
.LBB0_23:
	s_nop 0
	s_sendmsg sendmsg(MSG_DEALLOC_VGPRS)
	s_endpgm
	.section	.rodata,"a",@progbits
	.p2align	6, 0x0
	.amdhsa_kernel bluestein_single_fwd_len1989_dim1_half_op_CI_CI
		.amdhsa_group_segment_fixed_size 7956
		.amdhsa_private_segment_fixed_size 0
		.amdhsa_kernarg_size 104
		.amdhsa_user_sgpr_count 2
		.amdhsa_user_sgpr_dispatch_ptr 0
		.amdhsa_user_sgpr_queue_ptr 0
		.amdhsa_user_sgpr_kernarg_segment_ptr 1
		.amdhsa_user_sgpr_dispatch_id 0
		.amdhsa_user_sgpr_private_segment_size 0
		.amdhsa_wavefront_size32 1
		.amdhsa_uses_dynamic_stack 0
		.amdhsa_enable_private_segment 0
		.amdhsa_system_sgpr_workgroup_id_x 1
		.amdhsa_system_sgpr_workgroup_id_y 0
		.amdhsa_system_sgpr_workgroup_id_z 0
		.amdhsa_system_sgpr_workgroup_info 0
		.amdhsa_system_vgpr_workitem_id 0
		.amdhsa_next_free_vgpr 207
		.amdhsa_next_free_sgpr 16
		.amdhsa_reserve_vcc 1
		.amdhsa_float_round_mode_32 0
		.amdhsa_float_round_mode_16_64 0
		.amdhsa_float_denorm_mode_32 3
		.amdhsa_float_denorm_mode_16_64 3
		.amdhsa_fp16_overflow 0
		.amdhsa_workgroup_processor_mode 1
		.amdhsa_memory_ordered 1
		.amdhsa_forward_progress 0
		.amdhsa_round_robin_scheduling 0
		.amdhsa_exception_fp_ieee_invalid_op 0
		.amdhsa_exception_fp_denorm_src 0
		.amdhsa_exception_fp_ieee_div_zero 0
		.amdhsa_exception_fp_ieee_overflow 0
		.amdhsa_exception_fp_ieee_underflow 0
		.amdhsa_exception_fp_ieee_inexact 0
		.amdhsa_exception_int_div_zero 0
	.end_amdhsa_kernel
	.text
.Lfunc_end0:
	.size	bluestein_single_fwd_len1989_dim1_half_op_CI_CI, .Lfunc_end0-bluestein_single_fwd_len1989_dim1_half_op_CI_CI
                                        ; -- End function
	.section	.AMDGPU.csdata,"",@progbits
; Kernel info:
; codeLenInByte = 40284
; NumSgprs: 18
; NumVgprs: 207
; ScratchSize: 0
; MemoryBound: 0
; FloatMode: 240
; IeeeMode: 1
; LDSByteSize: 7956 bytes/workgroup (compile time only)
; SGPRBlocks: 2
; VGPRBlocks: 25
; NumSGPRsForWavesPerEU: 18
; NumVGPRsForWavesPerEU: 207
; Occupancy: 7
; WaveLimiterHint : 1
; COMPUTE_PGM_RSRC2:SCRATCH_EN: 0
; COMPUTE_PGM_RSRC2:USER_SGPR: 2
; COMPUTE_PGM_RSRC2:TRAP_HANDLER: 0
; COMPUTE_PGM_RSRC2:TGID_X_EN: 1
; COMPUTE_PGM_RSRC2:TGID_Y_EN: 0
; COMPUTE_PGM_RSRC2:TGID_Z_EN: 0
; COMPUTE_PGM_RSRC2:TIDIG_COMP_CNT: 0
	.text
	.p2alignl 7, 3214868480
	.fill 96, 4, 3214868480
	.type	__hip_cuid_3d3eab1f529d75c9,@object ; @__hip_cuid_3d3eab1f529d75c9
	.section	.bss,"aw",@nobits
	.globl	__hip_cuid_3d3eab1f529d75c9
__hip_cuid_3d3eab1f529d75c9:
	.byte	0                               ; 0x0
	.size	__hip_cuid_3d3eab1f529d75c9, 1

	.ident	"AMD clang version 19.0.0git (https://github.com/RadeonOpenCompute/llvm-project roc-6.4.0 25133 c7fe45cf4b819c5991fe208aaa96edf142730f1d)"
	.section	".note.GNU-stack","",@progbits
	.addrsig
	.addrsig_sym __hip_cuid_3d3eab1f529d75c9
	.amdgpu_metadata
---
amdhsa.kernels:
  - .args:
      - .actual_access:  read_only
        .address_space:  global
        .offset:         0
        .size:           8
        .value_kind:     global_buffer
      - .actual_access:  read_only
        .address_space:  global
        .offset:         8
        .size:           8
        .value_kind:     global_buffer
      - .actual_access:  read_only
        .address_space:  global
        .offset:         16
        .size:           8
        .value_kind:     global_buffer
      - .actual_access:  read_only
        .address_space:  global
        .offset:         24
        .size:           8
        .value_kind:     global_buffer
      - .actual_access:  read_only
        .address_space:  global
        .offset:         32
        .size:           8
        .value_kind:     global_buffer
      - .offset:         40
        .size:           8
        .value_kind:     by_value
      - .address_space:  global
        .offset:         48
        .size:           8
        .value_kind:     global_buffer
      - .address_space:  global
        .offset:         56
        .size:           8
        .value_kind:     global_buffer
      - .address_space:  global
        .offset:         64
        .size:           8
        .value_kind:     global_buffer
      - .address_space:  global
        .offset:         72
        .size:           8
        .value_kind:     global_buffer
      - .offset:         80
        .size:           4
        .value_kind:     by_value
      - .address_space:  global
        .offset:         88
        .size:           8
        .value_kind:     global_buffer
      - .address_space:  global
        .offset:         96
        .size:           8
        .value_kind:     global_buffer
    .group_segment_fixed_size: 7956
    .kernarg_segment_align: 8
    .kernarg_segment_size: 104
    .language:       OpenCL C
    .language_version:
      - 2
      - 0
    .max_flat_workgroup_size: 153
    .name:           bluestein_single_fwd_len1989_dim1_half_op_CI_CI
    .private_segment_fixed_size: 0
    .sgpr_count:     18
    .sgpr_spill_count: 0
    .symbol:         bluestein_single_fwd_len1989_dim1_half_op_CI_CI.kd
    .uniform_work_group_size: 1
    .uses_dynamic_stack: false
    .vgpr_count:     207
    .vgpr_spill_count: 0
    .wavefront_size: 32
    .workgroup_processor_mode: 1
amdhsa.target:   amdgcn-amd-amdhsa--gfx1201
amdhsa.version:
  - 1
  - 2
...

	.end_amdgpu_metadata
